;; amdgpu-corpus repo=ROCm/rocFFT kind=compiled arch=gfx1201 opt=O3
	.text
	.amdgcn_target "amdgcn-amd-amdhsa--gfx1201"
	.amdhsa_code_object_version 6
	.protected	fft_rtc_back_len845_factors_13_5_13_wgs_195_tpt_65_halfLds_half_op_CI_CI_sbrr_dirReg ; -- Begin function fft_rtc_back_len845_factors_13_5_13_wgs_195_tpt_65_halfLds_half_op_CI_CI_sbrr_dirReg
	.globl	fft_rtc_back_len845_factors_13_5_13_wgs_195_tpt_65_halfLds_half_op_CI_CI_sbrr_dirReg
	.p2align	8
	.type	fft_rtc_back_len845_factors_13_5_13_wgs_195_tpt_65_halfLds_half_op_CI_CI_sbrr_dirReg,@function
fft_rtc_back_len845_factors_13_5_13_wgs_195_tpt_65_halfLds_half_op_CI_CI_sbrr_dirReg: ; @fft_rtc_back_len845_factors_13_5_13_wgs_195_tpt_65_halfLds_half_op_CI_CI_sbrr_dirReg
; %bb.0:
	s_clause 0x1
	s_load_b128 s[12:15], s[0:1], 0x18
	s_load_b128 s[8:11], s[0:1], 0x0
	v_mul_u32_u24_e32 v1, 0x3f1, v0
	v_mov_b32_e32 v9, 0
	v_mov_b32_e32 v7, 0
	v_mov_b32_e32 v8, 0
	s_load_b128 s[4:7], s[0:1], 0x58
	s_wait_kmcnt 0x0
	s_load_b64 s[18:19], s[12:13], 0x0
	s_load_b64 s[16:17], s[14:15], 0x0
	v_lshrrev_b32_e32 v1, 16, v1
	v_cmp_lt_u64_e64 s2, s[10:11], 2
	s_delay_alu instid0(VALU_DEP_2) | instskip(SKIP_2) | instid1(VALU_DEP_4)
	v_mad_co_u64_u32 v[5:6], null, ttmp9, 3, v[1:2]
	v_dual_mov_b32 v6, v9 :: v_dual_mov_b32 v1, v7
	v_mov_b32_e32 v2, v8
	s_and_b32 vcc_lo, exec_lo, s2
	s_delay_alu instid0(VALU_DEP_2)
	v_dual_mov_b32 v3, v5 :: v_dual_mov_b32 v4, v6
	s_cbranch_vccnz .LBB0_8
; %bb.1:
	s_load_b64 s[2:3], s[0:1], 0x10
	v_dual_mov_b32 v7, 0 :: v_dual_mov_b32 v12, v6
	v_dual_mov_b32 v8, 0 :: v_dual_mov_b32 v11, v5
	s_delay_alu instid0(VALU_DEP_2) | instskip(SKIP_2) | instid1(VALU_DEP_2)
	v_mov_b32_e32 v1, v7
	s_add_nc_u64 s[20:21], s[14:15], 8
	s_add_nc_u64 s[22:23], s[12:13], 8
	v_mov_b32_e32 v2, v8
	s_mov_b64 s[24:25], 1
	s_wait_kmcnt 0x0
	s_add_nc_u64 s[26:27], s[2:3], 8
	s_mov_b32 s3, 0
.LBB0_2:                                ; =>This Inner Loop Header: Depth=1
	s_load_b64 s[28:29], s[26:27], 0x0
                                        ; implicit-def: $vgpr3_vgpr4
	s_mov_b32 s2, exec_lo
	s_wait_kmcnt 0x0
	v_or_b32_e32 v10, s29, v12
	s_delay_alu instid0(VALU_DEP_1)
	v_cmpx_ne_u64_e32 0, v[9:10]
	s_wait_alu 0xfffe
	s_xor_b32 s30, exec_lo, s2
	s_cbranch_execz .LBB0_4
; %bb.3:                                ;   in Loop: Header=BB0_2 Depth=1
	s_cvt_f32_u32 s2, s28
	s_cvt_f32_u32 s31, s29
	s_sub_nc_u64 s[36:37], 0, s[28:29]
	s_wait_alu 0xfffe
	s_delay_alu instid0(SALU_CYCLE_1) | instskip(SKIP_1) | instid1(SALU_CYCLE_2)
	s_fmamk_f32 s2, s31, 0x4f800000, s2
	s_wait_alu 0xfffe
	v_s_rcp_f32 s2, s2
	s_delay_alu instid0(TRANS32_DEP_1) | instskip(SKIP_1) | instid1(SALU_CYCLE_2)
	s_mul_f32 s2, s2, 0x5f7ffffc
	s_wait_alu 0xfffe
	s_mul_f32 s31, s2, 0x2f800000
	s_wait_alu 0xfffe
	s_delay_alu instid0(SALU_CYCLE_2) | instskip(SKIP_1) | instid1(SALU_CYCLE_2)
	s_trunc_f32 s31, s31
	s_wait_alu 0xfffe
	s_fmamk_f32 s2, s31, 0xcf800000, s2
	s_cvt_u32_f32 s35, s31
	s_wait_alu 0xfffe
	s_delay_alu instid0(SALU_CYCLE_1) | instskip(SKIP_1) | instid1(SALU_CYCLE_2)
	s_cvt_u32_f32 s34, s2
	s_wait_alu 0xfffe
	s_mul_u64 s[38:39], s[36:37], s[34:35]
	s_wait_alu 0xfffe
	s_mul_hi_u32 s41, s34, s39
	s_mul_i32 s40, s34, s39
	s_mul_hi_u32 s2, s34, s38
	s_mul_i32 s33, s35, s38
	s_wait_alu 0xfffe
	s_add_nc_u64 s[40:41], s[2:3], s[40:41]
	s_mul_hi_u32 s31, s35, s38
	s_mul_hi_u32 s42, s35, s39
	s_add_co_u32 s2, s40, s33
	s_wait_alu 0xfffe
	s_add_co_ci_u32 s2, s41, s31
	s_mul_i32 s38, s35, s39
	s_add_co_ci_u32 s39, s42, 0
	s_wait_alu 0xfffe
	s_add_nc_u64 s[38:39], s[2:3], s[38:39]
	s_wait_alu 0xfffe
	v_add_co_u32 v3, s2, s34, s38
	s_delay_alu instid0(VALU_DEP_1) | instskip(SKIP_1) | instid1(VALU_DEP_1)
	s_cmp_lg_u32 s2, 0
	s_add_co_ci_u32 s35, s35, s39
	v_readfirstlane_b32 s34, v3
	s_wait_alu 0xfffe
	s_delay_alu instid0(VALU_DEP_1)
	s_mul_u64 s[36:37], s[36:37], s[34:35]
	s_wait_alu 0xfffe
	s_mul_hi_u32 s39, s34, s37
	s_mul_i32 s38, s34, s37
	s_mul_hi_u32 s2, s34, s36
	s_mul_i32 s33, s35, s36
	s_wait_alu 0xfffe
	s_add_nc_u64 s[38:39], s[2:3], s[38:39]
	s_mul_hi_u32 s31, s35, s36
	s_mul_hi_u32 s34, s35, s37
	s_wait_alu 0xfffe
	s_add_co_u32 s2, s38, s33
	s_add_co_ci_u32 s2, s39, s31
	s_mul_i32 s36, s35, s37
	s_add_co_ci_u32 s37, s34, 0
	s_wait_alu 0xfffe
	s_add_nc_u64 s[36:37], s[2:3], s[36:37]
	s_wait_alu 0xfffe
	v_add_co_u32 v6, s2, v3, s36
	s_delay_alu instid0(VALU_DEP_1) | instskip(SKIP_1) | instid1(VALU_DEP_1)
	s_cmp_lg_u32 s2, 0
	s_add_co_ci_u32 s2, s35, s37
	v_mul_hi_u32 v10, v11, v6
	s_wait_alu 0xfffe
	v_mad_co_u64_u32 v[3:4], null, v11, s2, 0
	v_mad_co_u64_u32 v[13:14], null, v12, v6, 0
	;; [unrolled: 1-line block ×3, first 2 shown]
	s_delay_alu instid0(VALU_DEP_3) | instskip(SKIP_1) | instid1(VALU_DEP_4)
	v_add_co_u32 v3, vcc_lo, v10, v3
	s_wait_alu 0xfffd
	v_add_co_ci_u32_e32 v4, vcc_lo, 0, v4, vcc_lo
	s_delay_alu instid0(VALU_DEP_2) | instskip(SKIP_1) | instid1(VALU_DEP_2)
	v_add_co_u32 v3, vcc_lo, v3, v13
	s_wait_alu 0xfffd
	v_add_co_ci_u32_e32 v3, vcc_lo, v4, v14, vcc_lo
	s_wait_alu 0xfffd
	v_add_co_ci_u32_e32 v4, vcc_lo, 0, v16, vcc_lo
	s_delay_alu instid0(VALU_DEP_2) | instskip(SKIP_1) | instid1(VALU_DEP_2)
	v_add_co_u32 v6, vcc_lo, v3, v15
	s_wait_alu 0xfffd
	v_add_co_ci_u32_e32 v10, vcc_lo, 0, v4, vcc_lo
	s_delay_alu instid0(VALU_DEP_2) | instskip(SKIP_1) | instid1(VALU_DEP_3)
	v_mul_lo_u32 v13, s29, v6
	v_mad_co_u64_u32 v[3:4], null, s28, v6, 0
	v_mul_lo_u32 v14, s28, v10
	s_delay_alu instid0(VALU_DEP_2) | instskip(NEXT) | instid1(VALU_DEP_2)
	v_sub_co_u32 v3, vcc_lo, v11, v3
	v_add3_u32 v4, v4, v14, v13
	s_delay_alu instid0(VALU_DEP_1) | instskip(SKIP_1) | instid1(VALU_DEP_1)
	v_sub_nc_u32_e32 v13, v12, v4
	s_wait_alu 0xfffd
	v_subrev_co_ci_u32_e64 v13, s2, s29, v13, vcc_lo
	v_add_co_u32 v14, s2, v6, 2
	s_wait_alu 0xf1ff
	v_add_co_ci_u32_e64 v15, s2, 0, v10, s2
	v_sub_co_u32 v16, s2, v3, s28
	v_sub_co_ci_u32_e32 v4, vcc_lo, v12, v4, vcc_lo
	s_wait_alu 0xf1ff
	v_subrev_co_ci_u32_e64 v13, s2, 0, v13, s2
	s_delay_alu instid0(VALU_DEP_3) | instskip(NEXT) | instid1(VALU_DEP_3)
	v_cmp_le_u32_e32 vcc_lo, s28, v16
	v_cmp_eq_u32_e64 s2, s29, v4
	s_wait_alu 0xfffd
	v_cndmask_b32_e64 v16, 0, -1, vcc_lo
	v_cmp_le_u32_e32 vcc_lo, s29, v13
	s_wait_alu 0xfffd
	v_cndmask_b32_e64 v17, 0, -1, vcc_lo
	v_cmp_le_u32_e32 vcc_lo, s28, v3
	;; [unrolled: 3-line block ×3, first 2 shown]
	s_wait_alu 0xfffd
	v_cndmask_b32_e64 v18, 0, -1, vcc_lo
	v_cmp_eq_u32_e32 vcc_lo, s29, v13
	s_wait_alu 0xf1ff
	s_delay_alu instid0(VALU_DEP_2)
	v_cndmask_b32_e64 v3, v18, v3, s2
	s_wait_alu 0xfffd
	v_cndmask_b32_e32 v13, v17, v16, vcc_lo
	v_add_co_u32 v16, vcc_lo, v6, 1
	s_wait_alu 0xfffd
	v_add_co_ci_u32_e32 v17, vcc_lo, 0, v10, vcc_lo
	s_delay_alu instid0(VALU_DEP_3) | instskip(SKIP_1) | instid1(VALU_DEP_2)
	v_cmp_ne_u32_e32 vcc_lo, 0, v13
	s_wait_alu 0xfffd
	v_dual_cndmask_b32 v4, v17, v15 :: v_dual_cndmask_b32 v13, v16, v14
	v_cmp_ne_u32_e32 vcc_lo, 0, v3
	s_wait_alu 0xfffd
	s_delay_alu instid0(VALU_DEP_2) | instskip(NEXT) | instid1(VALU_DEP_3)
	v_cndmask_b32_e32 v4, v10, v4, vcc_lo
	v_cndmask_b32_e32 v3, v6, v13, vcc_lo
.LBB0_4:                                ;   in Loop: Header=BB0_2 Depth=1
	s_wait_alu 0xfffe
	s_and_not1_saveexec_b32 s2, s30
	s_cbranch_execz .LBB0_6
; %bb.5:                                ;   in Loop: Header=BB0_2 Depth=1
	v_cvt_f32_u32_e32 v3, s28
	s_sub_co_i32 s30, 0, s28
	s_delay_alu instid0(VALU_DEP_1) | instskip(NEXT) | instid1(TRANS32_DEP_1)
	v_rcp_iflag_f32_e32 v3, v3
	v_mul_f32_e32 v3, 0x4f7ffffe, v3
	s_delay_alu instid0(VALU_DEP_1) | instskip(SKIP_1) | instid1(VALU_DEP_1)
	v_cvt_u32_f32_e32 v3, v3
	s_wait_alu 0xfffe
	v_mul_lo_u32 v4, s30, v3
	s_delay_alu instid0(VALU_DEP_1) | instskip(NEXT) | instid1(VALU_DEP_1)
	v_mul_hi_u32 v4, v3, v4
	v_add_nc_u32_e32 v3, v3, v4
	s_delay_alu instid0(VALU_DEP_1) | instskip(NEXT) | instid1(VALU_DEP_1)
	v_mul_hi_u32 v3, v11, v3
	v_mul_lo_u32 v4, v3, s28
	v_add_nc_u32_e32 v6, 1, v3
	s_delay_alu instid0(VALU_DEP_2) | instskip(NEXT) | instid1(VALU_DEP_1)
	v_sub_nc_u32_e32 v4, v11, v4
	v_subrev_nc_u32_e32 v10, s28, v4
	v_cmp_le_u32_e32 vcc_lo, s28, v4
	s_wait_alu 0xfffd
	s_delay_alu instid0(VALU_DEP_2) | instskip(SKIP_1) | instid1(VALU_DEP_2)
	v_cndmask_b32_e32 v4, v4, v10, vcc_lo
	v_cndmask_b32_e32 v3, v3, v6, vcc_lo
	v_cmp_le_u32_e32 vcc_lo, s28, v4
	v_mov_b32_e32 v4, v9
	s_delay_alu instid0(VALU_DEP_3) | instskip(SKIP_1) | instid1(VALU_DEP_1)
	v_add_nc_u32_e32 v6, 1, v3
	s_wait_alu 0xfffd
	v_cndmask_b32_e32 v3, v3, v6, vcc_lo
.LBB0_6:                                ;   in Loop: Header=BB0_2 Depth=1
	s_wait_alu 0xfffe
	s_or_b32 exec_lo, exec_lo, s2
	v_mul_lo_u32 v6, v4, s28
	s_delay_alu instid0(VALU_DEP_2)
	v_mul_lo_u32 v10, v3, s29
	s_load_b64 s[30:31], s[22:23], 0x0
	v_mad_co_u64_u32 v[13:14], null, v3, s28, 0
	s_load_b64 s[28:29], s[20:21], 0x0
	s_add_nc_u64 s[24:25], s[24:25], 1
	s_add_nc_u64 s[20:21], s[20:21], 8
	s_wait_alu 0xfffe
	v_cmp_ge_u64_e64 s2, s[24:25], s[10:11]
	s_add_nc_u64 s[22:23], s[22:23], 8
	s_add_nc_u64 s[26:27], s[26:27], 8
	v_add3_u32 v6, v14, v10, v6
	v_sub_co_u32 v10, vcc_lo, v11, v13
	s_wait_alu 0xfffd
	s_delay_alu instid0(VALU_DEP_2) | instskip(SKIP_2) | instid1(VALU_DEP_1)
	v_sub_co_ci_u32_e32 v6, vcc_lo, v12, v6, vcc_lo
	s_and_b32 vcc_lo, exec_lo, s2
	s_wait_kmcnt 0x0
	v_mul_lo_u32 v11, s30, v6
	v_mul_lo_u32 v12, s31, v10
	v_mad_co_u64_u32 v[7:8], null, s30, v10, v[7:8]
	v_mul_lo_u32 v6, s28, v6
	v_mul_lo_u32 v13, s29, v10
	v_mad_co_u64_u32 v[1:2], null, s28, v10, v[1:2]
	s_delay_alu instid0(VALU_DEP_4) | instskip(NEXT) | instid1(VALU_DEP_2)
	v_add3_u32 v8, v12, v8, v11
	v_add3_u32 v2, v13, v2, v6
	s_wait_alu 0xfffe
	s_cbranch_vccnz .LBB0_8
; %bb.7:                                ;   in Loop: Header=BB0_2 Depth=1
	v_dual_mov_b32 v12, v4 :: v_dual_mov_b32 v11, v3
	s_branch .LBB0_2
.LBB0_8:
	s_load_b64 s[0:1], s[0:1], 0x28
	v_mul_hi_u32 v12, 0x3f03f04, v0
	s_lshl_b64 s[10:11], s[10:11], 3
                                        ; implicit-def: $sgpr2
                                        ; implicit-def: $vgpr9
                                        ; implicit-def: $vgpr10
                                        ; implicit-def: $vgpr11
	s_wait_kmcnt 0x0
	v_cmp_gt_u64_e32 vcc_lo, s[0:1], v[3:4]
	v_cmp_le_u64_e64 s0, s[0:1], v[3:4]
	s_delay_alu instid0(VALU_DEP_1)
	s_and_saveexec_b32 s1, s0
	s_wait_alu 0xfffe
	s_xor_b32 s0, exec_lo, s1
; %bb.9:
	v_mul_u32_u24_e32 v6, 0x41, v12
	s_mov_b32 s2, 0
                                        ; implicit-def: $vgpr12
                                        ; implicit-def: $vgpr7_vgpr8
	s_delay_alu instid0(VALU_DEP_1) | instskip(NEXT) | instid1(VALU_DEP_1)
	v_sub_nc_u32_e32 v9, v0, v6
                                        ; implicit-def: $vgpr0
	v_add_nc_u32_e32 v10, 0x41, v9
	v_add_nc_u32_e32 v11, 0x82, v9
; %bb.10:
	s_wait_alu 0xfffe
	s_or_saveexec_b32 s1, s0
	v_mov_b32_e32 v6, s2
	v_mov_b32_e32 v14, s2
	s_add_nc_u64 s[2:3], s[14:15], s[10:11]
                                        ; implicit-def: $vgpr47
                                        ; implicit-def: $vgpr35
                                        ; implicit-def: $vgpr46
                                        ; implicit-def: $vgpr36
                                        ; implicit-def: $vgpr45
                                        ; implicit-def: $vgpr37
                                        ; implicit-def: $vgpr44
                                        ; implicit-def: $vgpr38
                                        ; implicit-def: $vgpr40
                                        ; implicit-def: $vgpr39
                                        ; implicit-def: $vgpr33
                                        ; implicit-def: $vgpr41
                                        ; implicit-def: $vgpr17
                                        ; implicit-def: $vgpr53
                                        ; implicit-def: $vgpr18
                                        ; implicit-def: $vgpr52
                                        ; implicit-def: $vgpr31
                                        ; implicit-def: $vgpr50
                                        ; implicit-def: $vgpr32
                                        ; implicit-def: $vgpr49
                                        ; implicit-def: $vgpr34
                                        ; implicit-def: $vgpr48
                                        ; implicit-def: $vgpr42
                                        ; implicit-def: $vgpr43
	s_wait_alu 0xfffe
	s_xor_b32 exec_lo, exec_lo, s1
	s_cbranch_execz .LBB0_12
; %bb.11:
	v_mul_u32_u24_e32 v6, 0x41, v12
	s_add_nc_u64 s[10:11], s[12:13], s[10:11]
	s_load_b64 s[10:11], s[10:11], 0x0
	s_delay_alu instid0(VALU_DEP_1) | instskip(SKIP_1) | instid1(VALU_DEP_2)
	v_sub_nc_u32_e32 v9, v0, v6
	v_lshlrev_b64_e32 v[6:7], 2, v[7:8]
	v_mad_co_u64_u32 v[12:13], null, s18, v9, 0
	v_add_nc_u32_e32 v11, 0x82, v9
	v_add_nc_u32_e32 v30, 0x1c7, v9
	;; [unrolled: 1-line block ×4, first 2 shown]
	v_dual_mov_b32 v0, v13 :: v_dual_add_nc_u32 v33, 0x249, v9
	v_mad_co_u64_u32 v[16:17], null, s18, v11, 0
	s_delay_alu instid0(VALU_DEP_3)
	v_mad_co_u64_u32 v[44:45], null, s18, v46, 0
	s_wait_kmcnt 0x0
	v_mul_lo_u32 v13, s11, v3
	v_mul_lo_u32 v25, s10, v4
	v_mad_co_u64_u32 v[20:21], null, s10, v3, 0
	v_mad_co_u64_u32 v[22:23], null, s19, v9, v[0:1]
	v_add_nc_u32_e32 v28, 0xc3, v9
	s_delay_alu instid0(VALU_DEP_3) | instskip(NEXT) | instid1(VALU_DEP_3)
	v_add3_u32 v21, v21, v25, v13
	v_mov_b32_e32 v13, v22
	s_delay_alu instid0(VALU_DEP_3) | instskip(SKIP_1) | instid1(VALU_DEP_3)
	v_mad_co_u64_u32 v[18:19], null, s18, v28, 0
	v_add_nc_u32_e32 v10, 0x41, v9
	v_lshlrev_b64_e32 v[12:13], 2, v[12:13]
	s_delay_alu instid0(VALU_DEP_2) | instskip(NEXT) | instid1(VALU_DEP_1)
	v_mad_co_u64_u32 v[14:15], null, s18, v10, 0
	v_dual_mov_b32 v0, v15 :: v_dual_add_nc_u32 v29, 0x104, v9
	v_mov_b32_e32 v15, v19
	v_lshlrev_b64_e32 v[19:20], 2, v[20:21]
	s_delay_alu instid0(VALU_DEP_3) | instskip(NEXT) | instid1(VALU_DEP_4)
	v_mad_co_u64_u32 v[23:24], null, s18, v29, 0
	v_mad_co_u64_u32 v[25:26], null, s19, v10, v[0:1]
	v_mov_b32_e32 v8, v17
	v_mad_co_u64_u32 v[21:22], null, s19, v28, v[15:16]
	v_add_co_u32 v0, s0, s4, v19
	s_delay_alu instid0(VALU_DEP_4) | instskip(NEXT) | instid1(VALU_DEP_4)
	v_mov_b32_e32 v15, v25
	v_mad_co_u64_u32 v[26:27], null, s19, v11, v[8:9]
	s_wait_alu 0xf1ff
	v_add_co_ci_u32_e64 v8, s0, s5, v20, s0
	s_delay_alu instid0(VALU_DEP_3) | instskip(SKIP_2) | instid1(VALU_DEP_3)
	v_lshlrev_b64_e32 v[14:15], 2, v[14:15]
	v_add_co_u32 v40, s0, v0, v6
	s_wait_alu 0xf1ff
	v_add_co_ci_u32_e64 v42, s0, v8, v7, s0
	v_dual_mov_b32 v17, v26 :: v_dual_mov_b32 v0, v24
	s_delay_alu instid0(VALU_DEP_3)
	v_add_co_u32 v6, s0, v40, v14
	v_dual_mov_b32 v19, v21 :: v_dual_add_nc_u32 v8, 0x145, v9
	s_wait_alu 0xf1ff
	v_add_co_ci_u32_e64 v7, s0, v42, v15, s0
	v_lshlrev_b64_e32 v[14:15], 2, v[16:17]
	v_mad_co_u64_u32 v[16:17], null, s19, v29, v[0:1]
	v_mad_co_u64_u32 v[20:21], null, s18, v8, 0
	v_add_nc_u32_e32 v29, 0x186, v9
	v_mad_co_u64_u32 v[27:28], null, s18, v30, 0
	v_lshlrev_b64_e32 v[17:18], 2, v[18:19]
	v_mov_b32_e32 v24, v16
	s_delay_alu instid0(VALU_DEP_4) | instskip(SKIP_4) | instid1(VALU_DEP_3)
	v_mad_co_u64_u32 v[25:26], null, s18, v29, 0
	v_mov_b32_e32 v0, v21
	v_add_co_u32 v14, s0, v40, v14
	s_wait_alu 0xf1ff
	v_add_co_ci_u32_e64 v15, s0, v42, v15, s0
	v_mad_co_u64_u32 v[21:22], null, s19, v8, v[0:1]
	v_mov_b32_e32 v0, v26
	v_mov_b32_e32 v8, v28
	v_add_co_u32 v16, s0, v40, v17
	s_wait_alu 0xf1ff
	v_add_co_ci_u32_e64 v17, s0, v42, v18, s0
	v_lshlrev_b64_e32 v[18:19], 2, v[23:24]
	v_mad_co_u64_u32 v[22:23], null, s19, v29, v[0:1]
	v_mad_co_u64_u32 v[23:24], null, s19, v30, v[8:9]
	v_add_nc_u32_e32 v8, 0x208, v9
	v_lshlrev_b64_e32 v[20:21], 2, v[20:21]
	v_add_co_u32 v18, s0, v40, v18
	v_mov_b32_e32 v26, v22
	s_wait_alu 0xf1ff
	v_add_co_ci_u32_e64 v19, s0, v42, v19, s0
	v_mov_b32_e32 v28, v23
	v_mad_co_u64_u32 v[22:23], null, s18, v8, 0
	v_lshlrev_b64_e32 v[24:25], 2, v[25:26]
	v_add_co_u32 v20, s0, v40, v20
	s_delay_alu instid0(VALU_DEP_4)
	v_lshlrev_b64_e32 v[26:27], 2, v[27:28]
	v_mad_co_u64_u32 v[28:29], null, s18, v33, 0
	v_mov_b32_e32 v0, v23
	s_wait_alu 0xf1ff
	v_add_co_ci_u32_e64 v21, s0, v42, v21, s0
	v_add_co_u32 v24, s0, v40, v24
	s_delay_alu instid0(VALU_DEP_3)
	v_mad_co_u64_u32 v[30:31], null, s19, v8, v[0:1]
	v_mad_co_u64_u32 v[31:32], null, s18, v34, 0
	v_mov_b32_e32 v0, v29
	s_wait_alu 0xf1ff
	v_add_co_ci_u32_e64 v25, s0, v42, v25, s0
	v_add_co_u32 v26, s0, v40, v26
	s_delay_alu instid0(VALU_DEP_4)
	v_dual_mov_b32 v23, v30 :: v_dual_mov_b32 v8, v32
	v_mad_co_u64_u32 v[29:30], null, s19, v33, v[0:1]
	v_add_nc_u32_e32 v30, 0x2cb, v9
	s_wait_alu 0xf1ff
	v_add_co_ci_u32_e64 v27, s0, v42, v27, s0
	v_mad_co_u64_u32 v[32:33], null, s19, v34, v[8:9]
	s_delay_alu instid0(VALU_DEP_3)
	v_mad_co_u64_u32 v[33:34], null, s18, v30, 0
	s_clause 0x6
	global_load_b32 v35, v[6:7], off
	global_load_b32 v36, v[14:15], off
	;; [unrolled: 1-line block ×7, first 2 shown]
	v_lshlrev_b64_e32 v[6:7], 2, v[22:23]
	v_mov_b32_e32 v0, v34
	s_delay_alu instid0(VALU_DEP_2) | instskip(SKIP_1) | instid1(VALU_DEP_3)
	v_add_co_u32 v6, s0, v40, v6
	s_wait_alu 0xf1ff
	v_add_co_ci_u32_e64 v7, s0, v42, v7, s0
	s_delay_alu instid0(VALU_DEP_3) | instskip(SKIP_2) | instid1(VALU_DEP_2)
	v_mad_co_u64_u32 v[14:15], null, s19, v30, v[0:1]
	v_mov_b32_e32 v0, v45
	v_lshlrev_b64_e32 v[15:16], 2, v[28:29]
	v_mad_co_u64_u32 v[17:18], null, s19, v46, v[0:1]
	v_lshlrev_b64_e32 v[18:19], 2, v[31:32]
	v_mov_b32_e32 v34, v14
	s_delay_alu instid0(VALU_DEP_4)
	v_add_co_u32 v14, s0, v40, v15
	s_wait_alu 0xf1ff
	v_add_co_ci_u32_e64 v15, s0, v42, v16, s0
	v_mov_b32_e32 v45, v17
	v_lshlrev_b64_e32 v[20:21], 2, v[33:34]
	v_add_co_u32 v16, s0, v40, v18
	s_wait_alu 0xf1ff
	v_add_co_ci_u32_e64 v17, s0, v42, v19, s0
	v_lshlrev_b64_e32 v[18:19], 2, v[44:45]
	s_delay_alu instid0(VALU_DEP_4) | instskip(SKIP_2) | instid1(VALU_DEP_3)
	v_add_co_u32 v20, s0, v40, v20
	s_wait_alu 0xf1ff
	v_add_co_ci_u32_e64 v21, s0, v42, v21, s0
	v_add_co_u32 v18, s0, v40, v18
	s_wait_alu 0xf1ff
	v_add_co_ci_u32_e64 v19, s0, v42, v19, s0
	s_clause 0x4
	global_load_b32 v48, v[6:7], off
	global_load_b32 v49, v[14:15], off
	;; [unrolled: 1-line block ×5, first 2 shown]
	v_add_co_u32 v6, s0, v40, v12
	s_wait_alu 0xf1ff
	v_add_co_ci_u32_e64 v7, s0, v42, v13, s0
	global_load_b32 v14, v[6:7], off
	v_mov_b32_e32 v6, v9
	s_wait_loadcnt 0xc
	v_lshrrev_b32_e32 v47, 16, v35
	s_wait_loadcnt 0xb
	v_lshrrev_b32_e32 v46, 16, v36
	;; [unrolled: 2-line block ×12, first 2 shown]
.LBB0_12:
	s_or_b32 exec_lo, exec_lo, s1
	s_delay_alu instid0(VALU_DEP_1)
	v_sub_f16_e32 v12, v47, v17
	v_mul_hi_u32 v7, 0xaaaaaaab, v5
	v_add_f16_e32 v8, v35, v53
	v_sub_f16_e32 v15, v46, v18
	s_wait_loadcnt 0x0
	v_add_f16_e32 v0, v35, v14
	v_pk_mul_f16 v26, 0xba95b770, v12 op_sel_hi:[1,0]
	v_add_f16_e32 v13, v36, v52
	v_sub_f16_e32 v19, v45, v31
	v_pk_mul_f16 v27, 0xbb7bba95, v15 op_sel_hi:[1,0]
	v_lshrrev_b32_e32 v7, 1, v7
	v_pk_fma_f16 v51, 0x388b3b15, v8, v26 op_sel_hi:[1,0,1]
	v_add_f16_e32 v0, v36, v0
	v_add_f16_e32 v16, v37, v50
	v_sub_f16_e32 v20, v44, v32
	v_pk_mul_f16 v28, 0xb3a8bbf1, v19 op_sel_hi:[1,0]
	v_pk_fma_f16 v58, 0xb5ac388b, v13, v27 op_sel_hi:[1,0,1]
	v_lshl_add_u32 v7, v7, 1, v7
	v_pk_add_f16 v51, v51, v14 op_sel_hi:[1,0]
	v_add_f16_e32 v0, v37, v0
	v_add_f16_e32 v21, v38, v49
	v_sub_f16_e32 v23, v40, v34
	v_pk_mul_f16 v29, 0x394ebb7b, v20 op_sel_hi:[1,0]
	v_pk_mul_f16 v55, 0xbb7bbbf1, v12 op_sel_hi:[1,0]
	v_pk_fma_f16 v59, 0xbbc42fb7, v16, v28 op_sel_hi:[1,0,1]
	v_sub_nc_u32_e32 v5, v5, v7
	v_pk_add_f16 v7, v58, v51
	v_add_f16_e32 v0, v38, v0
	v_add_f16_e32 v22, v39, v48
	v_pk_mul_f16 v30, 0x3bf1b94e, v23 op_sel_hi:[1,0]
	v_pk_mul_f16 v56, 0x394eb3a8, v15 op_sel_hi:[1,0]
	v_pk_mul_f16 v12, 0xb3a8b94e, v12 op_sel_hi:[1,0]
	v_pk_fma_f16 v60, 0xb9fdb5ac, v21, v29 op_sel_hi:[1,0,1]
	v_mul_u32_u24_e32 v62, 0x34d, v5
	v_pk_add_f16 v5, v59, v7
	v_pk_fma_f16 v7, 0xb5ac2fb7, v8, v55 op_sel_hi:[1,0,1]
	v_add_f16_e32 v0, v39, v0
	v_sub_f16_e32 v25, v33, v42
	v_pk_mul_f16 v57, 0x37703b7b, v19 op_sel_hi:[1,0]
	v_pk_fma_f16 v58, 0x2fb7b9fd, v22, v30 op_sel_hi:[1,0,1]
	v_pk_fma_f16 v59, 0xb9fdbbc4, v13, v56 op_sel_hi:[1,0,1]
	v_pk_add_f16 v5, v60, v5
	v_pk_fma_f16 v60, 0xbbc4b9fd, v8, v12 op_sel_hi:[1,0,1]
	v_pk_add_f16 v7, v7, v14 op_sel_hi:[1,0]
	v_pk_mul_f16 v15, 0x37703bf1, v15 op_sel_hi:[1,0]
	v_pk_fma_f16 v12, 0xbbc4b9fd, v8, v12 op_sel_hi:[1,0,1] neg_lo:[0,0,1] neg_hi:[0,0,1]
	v_pk_fma_f16 v55, 0xb5ac2fb7, v8, v55 op_sel_hi:[1,0,1] neg_lo:[0,0,1] neg_hi:[0,0,1]
	;; [unrolled: 1-line block ×3, first 2 shown]
	v_add_f16_e32 v0, v41, v0
	v_add_f16_e32 v24, v41, v43
	v_pk_mul_f16 v54, 0x3770b3a8, v25 op_sel_hi:[1,0]
	v_pk_add_f16 v5, v58, v5
	v_pk_add_f16 v7, v59, v7
	v_pk_fma_f16 v58, 0x3b15b5ac, v16, v57 op_sel_hi:[1,0,1]
	v_pk_mul_f16 v59, 0xbbf13770, v20 op_sel_hi:[1,0]
	v_pk_add_f16 v60, v60, v14 op_sel_hi:[1,0]
	v_pk_fma_f16 v64, 0x3b152fb7, v13, v15 op_sel_hi:[1,0,1]
	v_pk_mul_f16 v19, 0xb94eba95, v19 op_sel_hi:[1,0]
	v_pk_add_f16 v12, v12, v14 op_sel_hi:[1,0]
	v_pk_fma_f16 v15, 0x3b152fb7, v13, v15 op_sel_hi:[1,0,1] neg_lo:[0,0,1] neg_hi:[0,0,1]
	v_pk_add_f16 v26, v55, v14 op_sel_hi:[1,0]
	v_pk_fma_f16 v55, 0xb9fdbbc4, v13, v56 op_sel_hi:[1,0,1] neg_lo:[0,0,1] neg_hi:[0,0,1]
	;; [unrolled: 2-line block ×3, first 2 shown]
	v_add_f16_e32 v0, v43, v0
	v_pk_fma_f16 v61, 0x3b15bbc4, v24, v54 op_sel_hi:[1,0,1]
	v_pk_add_f16 v7, v58, v7
	v_pk_fma_f16 v58, 0x2fb73b15, v21, v59 op_sel_hi:[1,0,1]
	v_pk_mul_f16 v65, 0x33a8ba95, v23 op_sel_hi:[1,0]
	v_pk_add_f16 v60, v64, v60
	v_pk_fma_f16 v64, 0xb9fd388b, v16, v19 op_sel_hi:[1,0,1]
	v_pk_mul_f16 v66, 0x3a9533a8, v20 op_sel_hi:[1,0]
	v_pk_add_f16 v12, v15, v12
	v_pk_fma_f16 v15, 0xb9fd388b, v16, v19 op_sel_hi:[1,0,1] neg_lo:[0,0,1] neg_hi:[0,0,1]
	v_pk_add_f16 v19, v55, v26
	v_pk_fma_f16 v26, 0x3b15b5ac, v16, v57 op_sel_hi:[1,0,1] neg_lo:[0,0,1] neg_hi:[0,0,1]
	;; [unrolled: 2-line block ×3, first 2 shown]
	v_add_f16_e32 v0, v48, v0
	v_pk_add_f16 v7, v58, v7
	v_pk_fma_f16 v58, 0xbbc4388b, v22, v65 op_sel_hi:[1,0,1]
	v_pk_add_f16 v60, v64, v60
	v_pk_fma_f16 v64, 0x388bbbc4, v21, v66 op_sel_hi:[1,0,1]
	v_pk_add_f16 v20, v61, v5
	v_pk_mul_f16 v5, 0xbb7b3770, v23 op_sel_hi:[1,0]
	v_pk_add_f16 v12, v15, v12
	v_pk_fma_f16 v15, 0x388bbbc4, v21, v66 op_sel_hi:[1,0,1] neg_lo:[0,0,1] neg_hi:[0,0,1]
	v_pk_add_f16 v16, v26, v19
	v_pk_fma_f16 v19, 0x2fb73b15, v21, v59 op_sel_hi:[1,0,1] neg_lo:[0,0,1] neg_hi:[0,0,1]
	v_pk_add_f16 v8, v13, v8
	v_pk_fma_f16 v13, 0xb9fdb5ac, v21, v29 op_sel_hi:[1,0,1] neg_lo:[0,0,1] neg_hi:[0,0,1]
	v_add_f16_e32 v0, v49, v0
	v_pk_mul_f16 v67, 0x3a95b94e, v25 op_sel_hi:[1,0]
	v_pk_add_f16 v7, v58, v7
	v_pk_add_f16 v58, v64, v60
	v_pk_fma_f16 v60, 0xb5ac3b15, v22, v5 op_sel_hi:[1,0,1]
	v_pk_mul_f16 v25, 0x3bf1bb7b, v25 op_sel_hi:[1,0]
	v_pk_add_f16 v12, v15, v12
	v_pk_fma_f16 v5, 0xb5ac3b15, v22, v5 op_sel_hi:[1,0,1] neg_lo:[0,0,1] neg_hi:[0,0,1]
	v_pk_add_f16 v15, v19, v16
	v_pk_fma_f16 v16, 0xbbc4388b, v22, v65 op_sel_hi:[1,0,1] neg_lo:[0,0,1] neg_hi:[0,0,1]
	;; [unrolled: 2-line block ×3, first 2 shown]
	v_add_f16_e32 v0, v50, v0
	v_pk_add_f16 v5, v5, v12
	v_pk_fma_f16 v12, 0x2fb7b5ac, v24, v25 op_sel_hi:[1,0,1] neg_lo:[0,0,1] neg_hi:[0,0,1]
	v_pk_add_f16 v15, v16, v15
	v_pk_fma_f16 v16, 0x388bb9fd, v24, v67 op_sel_hi:[1,0,1] neg_lo:[0,0,1] neg_hi:[0,0,1]
	;; [unrolled: 2-line block ×3, first 2 shown]
	v_lshl_add_u32 v63, v62, 1, 0
	v_add_f16_e32 v0, v52, v0
	v_pk_fma_f16 v23, 0x388bb9fd, v24, v67 op_sel_hi:[1,0,1]
	v_pk_add_f16 v22, v60, v58
	v_pk_fma_f16 v24, 0x2fb7b5ac, v24, v25 op_sel_hi:[1,0,1]
	v_pk_add_f16 v5, v12, v5
	v_pk_add_f16 v13, v16, v15
	;; [unrolled: 1-line block ×3, first 2 shown]
	v_mad_u32_u24 v51, v9, 26, v63
	v_add_f16_e32 v0, v53, v0
	v_pk_add_f16 v21, v23, v7
	v_pk_add_f16 v22, v24, v22
	v_alignbit_b32 v23, v5, v5, 16
	v_alignbit_b32 v7, v13, v13, 16
	;; [unrolled: 1-line block ×3, first 2 shown]
	s_load_b64 s[2:3], s[2:3], 0x0
	ds_store_b16 v51, v0
	ds_store_b128 v51, v[20:23] offset:2
	ds_store_b64 v51, v[7:8] offset:18
	v_lshl_add_u32 v5, v9, 1, v63
	v_mad_i32_i24 v7, 0xffffffe8, v9, v51
	global_wb scope:SCOPE_SE
	s_wait_dscnt 0x0
	s_wait_kmcnt 0x0
	s_barrier_signal -1
	s_barrier_wait -1
	global_inv scope:SCOPE_SE
	ds_load_u16 v15, v5
	ds_load_u16 v22, v7 offset:338
	v_lshl_add_u32 v8, v10, 1, v63
	ds_load_u16 v21, v7 offset:1352
	ds_load_u16 v20, v7 offset:1144
	;; [unrolled: 1-line block ×6, first 2 shown]
	ds_load_u16 v16, v8
	ds_load_u16 v24, v7 offset:1482
	v_cmp_gt_u32_e64 s0, 39, v9
	v_lshrrev_b32_e32 v25, 16, v19
	v_lshlrev_b32_e32 v0, 1, v11
	v_lshlrev_b32_e32 v12, 1, v62
                                        ; implicit-def: $vgpr27
                                        ; implicit-def: $vgpr29
	s_delay_alu instid0(VALU_DEP_4)
	s_and_saveexec_b32 s1, s0
	s_cbranch_execz .LBB0_14
; %bb.13:
	s_delay_alu instid0(VALU_DEP_1)
	v_add3_u32 v13, 0, v0, v12
	ds_load_u16 v25, v7 offset:598
	ds_load_u16 v19, v7 offset:936
	;; [unrolled: 1-line block ×3, first 2 shown]
	ds_load_u16 v13, v13
	ds_load_u16 v27, v7 offset:1612
.LBB0_14:
	s_wait_alu 0xfffe
	s_or_b32 exec_lo, exec_lo, s1
	v_lshrrev_b32_e32 v54, 16, v14
	v_add_f16_e32 v55, v47, v17
	v_sub_f16_e32 v35, v35, v53
	v_add_f16_e32 v53, v46, v18
	v_sub_f16_e32 v41, v41, v43
	;; [unrolled: 2-line block ×4, first 2 shown]
	v_sub_f16_e32 v39, v39, v48
	v_add_f16_e32 v46, v46, v47
	v_add_f16_e32 v47, v40, v34
	;; [unrolled: 1-line block ×3, first 2 shown]
	v_sub_f16_e32 v37, v37, v50
	v_add_f16_e32 v50, v44, v32
	v_add_f16_e32 v43, v45, v46
	v_pk_mul_f16 v45, 0xba95b770, v35 op_sel_hi:[1,0]
	v_pk_mul_f16 v46, 0xbb7bba95, v36 op_sel_hi:[1,0]
	;; [unrolled: 1-line block ×4, first 2 shown]
	v_add_f16_e32 v43, v44, v43
	v_pk_fma_f16 v60, 0x388b3b15, v55, v45 op_sel_hi:[1,0,1] neg_lo:[0,0,1] neg_hi:[0,0,1]
	v_pk_mul_f16 v49, 0xb3a8bbf1, v37 op_sel_hi:[1,0]
	v_pk_mul_f16 v58, 0x394eb3a8, v36 op_sel_hi:[1,0]
	v_pk_fma_f16 v61, 0xb5ac388b, v53, v46 op_sel_hi:[1,0,1] neg_lo:[0,0,1] neg_hi:[0,0,1]
	v_add_f16_e32 v40, v40, v43
	v_pk_fma_f16 v62, 0xb9fdb5ac, v50, v54 op_sel_hi:[1,0,1] neg_lo:[0,0,1] neg_hi:[0,0,1]
	v_pk_add_f16 v60, v60, v14 op_sel:[0,1]
	v_pk_mul_f16 v43, 0x37703b7b, v37 op_sel_hi:[1,0]
	v_pk_mul_f16 v44, 0x3bf1b94e, v39 op_sel_hi:[1,0]
	v_add_f16_e32 v33, v33, v40
	v_pk_fma_f16 v40, 0xbbc42fb7, v52, v49 op_sel_hi:[1,0,1] neg_lo:[0,0,1] neg_hi:[0,0,1]
	v_pk_mul_f16 v59, 0xbbf13770, v38 op_sel_hi:[1,0]
	v_pk_mul_f16 v56, 0x3770b3a8, v41 op_sel_hi:[1,0]
	v_pk_fma_f16 v63, 0x2fb7b9fd, v47, v44 op_sel_hi:[1,0,1] neg_lo:[0,0,1] neg_hi:[0,0,1]
	v_add_f16_e32 v33, v42, v33
	v_pk_fma_f16 v42, 0x388b3b15, v55, v45 op_sel_hi:[1,0,1]
	v_pk_fma_f16 v45, 0xb5ac388b, v53, v46 op_sel_hi:[1,0,1]
	;; [unrolled: 1-line block ×3, first 2 shown]
	v_pk_add_f16 v49, v61, v60
	v_add_f16_e32 v33, v34, v33
	v_pk_fma_f16 v34, 0xb9fdb5ac, v50, v54 op_sel_hi:[1,0,1]
	v_pk_add_f16 v42, v42, v14 op_sel:[0,1]
	v_pk_fma_f16 v54, 0xb5ac2fb7, v55, v57 op_sel_hi:[1,0,1] neg_lo:[0,0,1] neg_hi:[0,0,1]
	v_pk_add_f16 v40, v40, v49
	v_add_f16_e32 v32, v32, v33
	v_pk_fma_f16 v33, 0xb9fdbbc4, v53, v58 op_sel_hi:[1,0,1] neg_lo:[0,0,1] neg_hi:[0,0,1]
	v_pk_add_f16 v42, v45, v42
	v_pk_add_f16 v45, v54, v14 op_sel:[0,1]
	v_pk_add_f16 v40, v62, v40
	v_add_f16_e32 v31, v31, v32
	v_pk_fma_f16 v32, 0x3b15b5ac, v52, v43 op_sel_hi:[1,0,1] neg_lo:[0,0,1] neg_hi:[0,0,1]
	v_pk_add_f16 v42, v46, v42
	v_pk_add_f16 v33, v33, v45
	;; [unrolled: 1-line block ×3, first 2 shown]
	v_add_f16_e32 v18, v18, v31
	v_pk_fma_f16 v31, 0x3b15bbc4, v48, v56 op_sel_hi:[1,0,1] neg_lo:[0,0,1] neg_hi:[0,0,1]
	v_pk_add_f16 v42, v34, v42
	v_pk_add_f16 v32, v32, v33
	v_pk_fma_f16 v33, 0x2fb73b15, v50, v59 op_sel_hi:[1,0,1] neg_lo:[0,0,1] neg_hi:[0,0,1]
	v_pk_fma_f16 v44, 0x2fb7b9fd, v47, v44 op_sel_hi:[1,0,1]
	v_add_f16_e32 v46, v17, v18
	v_pk_mul_f16 v35, 0xb3a8b94e, v35 op_sel_hi:[1,0]
	v_pk_add_f16 v34, v31, v40
	v_pk_add_f16 v17, v33, v32
	v_pk_fma_f16 v32, 0xb5ac2fb7, v55, v57 op_sel_hi:[1,0,1]
	v_pk_add_f16 v31, v44, v42
	v_pk_fma_f16 v40, 0xb9fdbbc4, v53, v58 op_sel_hi:[1,0,1]
	v_pk_fma_f16 v42, 0xbbc4b9fd, v55, v35 op_sel_hi:[1,0,1] neg_lo:[0,0,1] neg_hi:[0,0,1]
	v_pk_mul_f16 v36, 0x37703bf1, v36 op_sel_hi:[1,0]
	v_pk_add_f16 v32, v32, v14 op_sel:[0,1]
	v_pk_fma_f16 v35, 0xbbc4b9fd, v55, v35 op_sel_hi:[1,0,1]
	v_pk_mul_f16 v37, 0xb94eba95, v37 op_sel_hi:[1,0]
	v_pk_mul_f16 v45, 0x33a8ba95, v39 op_sel_hi:[1,0]
	;; [unrolled: 1-line block ×3, first 2 shown]
	v_pk_add_f16 v32, v40, v32
	v_pk_add_f16 v40, v42, v14 op_sel:[0,1]
	v_pk_fma_f16 v42, 0x3b152fb7, v53, v36 op_sel_hi:[1,0,1] neg_lo:[0,0,1] neg_hi:[0,0,1]
	v_pk_add_f16 v14, v35, v14 op_sel:[0,1]
	v_pk_fma_f16 v35, 0x3b152fb7, v53, v36 op_sel_hi:[1,0,1]
	v_pk_fma_f16 v36, 0x3b15b5ac, v52, v43 op_sel_hi:[1,0,1]
	v_pk_fma_f16 v18, 0xbbc4388b, v47, v45 op_sel_hi:[1,0,1] neg_lo:[0,0,1] neg_hi:[0,0,1]
	v_pk_add_f16 v40, v42, v40
	v_pk_fma_f16 v42, 0xb9fd388b, v52, v37 op_sel_hi:[1,0,1] neg_lo:[0,0,1] neg_hi:[0,0,1]
	v_pk_add_f16 v14, v35, v14
	v_pk_fma_f16 v35, 0xb9fd388b, v52, v37 op_sel_hi:[1,0,1]
	v_pk_add_f16 v32, v36, v32
	v_pk_fma_f16 v36, 0x2fb73b15, v50, v59 op_sel_hi:[1,0,1]
	v_pk_add_f16 v37, v42, v40
	v_pk_fma_f16 v40, 0x388bbbc4, v50, v38 op_sel_hi:[1,0,1] neg_lo:[0,0,1] neg_hi:[0,0,1]
	v_pk_add_f16 v14, v35, v14
	v_pk_fma_f16 v35, 0x388bbbc4, v50, v38 op_sel_hi:[1,0,1]
	v_pk_mul_f16 v38, 0xbb7b3770, v39 op_sel_hi:[1,0]
	v_pk_add_f16 v17, v18, v17
	v_pk_mul_f16 v18, 0x3a95b94e, v41 op_sel_hi:[1,0]
	v_pk_add_f16 v32, v36, v32
	v_pk_fma_f16 v36, 0xbbc4388b, v47, v45 op_sel_hi:[1,0,1]
	v_pk_add_f16 v14, v35, v14
	v_pk_fma_f16 v35, 0xb5ac3b15, v47, v38 op_sel_hi:[1,0,1]
	v_pk_mul_f16 v39, 0x3bf1bb7b, v41 op_sel_hi:[1,0]
	v_pk_fma_f16 v44, 0x388bb9fd, v48, v18 op_sel_hi:[1,0,1] neg_lo:[0,0,1] neg_hi:[0,0,1]
	v_pk_add_f16 v37, v40, v37
	v_pk_fma_f16 v38, 0xb5ac3b15, v47, v38 op_sel_hi:[1,0,1] neg_lo:[0,0,1] neg_hi:[0,0,1]
	v_pk_add_f16 v32, v36, v32
	v_pk_add_f16 v14, v35, v14
	v_pk_fma_f16 v36, 0x2fb7b5ac, v48, v39 op_sel_hi:[1,0,1]
	v_pk_fma_f16 v33, 0x3b15bbc4, v48, v56 op_sel_hi:[1,0,1]
	v_pk_fma_f16 v18, 0x388bb9fd, v48, v18 op_sel_hi:[1,0,1]
	v_pk_add_f16 v37, v38, v37
	v_pk_fma_f16 v38, 0x2fb7b5ac, v48, v39 op_sel_hi:[1,0,1] neg_lo:[0,0,1] neg_hi:[0,0,1]
	v_pk_add_f16 v35, v44, v17
	v_pk_add_f16 v17, v36, v14
	;; [unrolled: 1-line block ×5, first 2 shown]
	global_wb scope:SCOPE_SE
	s_wait_dscnt 0x0
	v_alignbit_b32 v37, v17, v17, 16
	v_alignbit_b32 v18, v33, v33, 16
	;; [unrolled: 1-line block ×3, first 2 shown]
	s_barrier_signal -1
	s_barrier_wait -1
	global_inv scope:SCOPE_SE
	ds_store_b16 v51, v46
	ds_store_b128 v51, v[34:37] offset:2
	ds_store_b64 v51, v[17:18] offset:18
	global_wb scope:SCOPE_SE
	s_wait_dscnt 0x0
	s_barrier_signal -1
	s_barrier_wait -1
	global_inv scope:SCOPE_SE
	ds_load_u16 v17, v5
	ds_load_u16 v42, v7 offset:338
	ds_load_u16 v39, v7 offset:1352
	;; [unrolled: 1-line block ×7, first 2 shown]
	ds_load_u16 v18, v8
	ds_load_u16 v41, v7 offset:1482
	v_lshrrev_b32_e32 v45, 16, v33
                                        ; implicit-def: $vgpr43
                                        ; implicit-def: $vgpr44
	s_and_saveexec_b32 s1, s0
	s_cbranch_execz .LBB0_16
; %bb.15:
	v_add3_u32 v14, 0, v0, v12
	ds_load_u16 v45, v7 offset:598
	ds_load_u16 v33, v7 offset:936
	;; [unrolled: 1-line block ×3, first 2 shown]
	ds_load_u16 v14, v14
	ds_load_u16 v43, v7 offset:1612
.LBB0_16:
	s_wait_alu 0xfffe
	s_or_b32 exec_lo, exec_lo, s1
	v_and_b32_e32 v31, 0xff, v9
	v_and_b32_e32 v32, 0xff, v10
	v_and_b32_e32 v34, 0xff, v11
	s_delay_alu instid0(VALU_DEP_3) | instskip(NEXT) | instid1(VALU_DEP_3)
	v_mul_lo_u16 v31, 0x4f, v31
	v_mul_lo_u16 v32, 0x4f, v32
	s_delay_alu instid0(VALU_DEP_3) | instskip(NEXT) | instid1(VALU_DEP_3)
	v_mul_lo_u16 v34, 0x4f, v34
	v_lshrrev_b16 v31, 10, v31
	s_delay_alu instid0(VALU_DEP_3) | instskip(NEXT) | instid1(VALU_DEP_3)
	v_lshrrev_b16 v32, 10, v32
	v_lshrrev_b16 v34, 10, v34
	s_delay_alu instid0(VALU_DEP_3) | instskip(NEXT) | instid1(VALU_DEP_3)
	v_mul_lo_u16 v35, v31, 13
	v_mul_lo_u16 v36, v32, 13
	s_delay_alu instid0(VALU_DEP_3)
	v_mul_lo_u16 v37, v34, 13
	v_and_b32_e32 v31, 0xffff, v31
	v_and_b32_e32 v32, 0xffff, v32
	v_sub_nc_u16 v35, v9, v35
	v_sub_nc_u16 v10, v10, v36
	v_sub_nc_u16 v11, v11, v37
	v_mad_u32_u24 v31, 0x82, v31, 0
	s_delay_alu instid0(VALU_DEP_4) | instskip(NEXT) | instid1(VALU_DEP_4)
	v_and_b32_e32 v35, 0xff, v35
	v_and_b32_e32 v36, 0xff, v10
	s_delay_alu instid0(VALU_DEP_4) | instskip(NEXT) | instid1(VALU_DEP_3)
	v_and_b32_e32 v11, 0xff, v11
	v_lshlrev_b32_e32 v10, 4, v35
	s_delay_alu instid0(VALU_DEP_3)
	v_lshlrev_b32_e32 v37, 4, v36
	global_load_b128 v[57:60], v10, s[8:9]
	v_lshlrev_b32_e32 v10, 4, v11
	v_lshlrev_b32_e32 v11, 1, v11
	s_clause 0x1
	global_load_b128 v[61:64], v37, s[8:9]
	global_load_b128 v[65:68], v10, s[8:9]
	v_and_b32_e32 v10, 0xffff, v34
	v_mad_u32_u24 v34, 0x82, v32, 0
	v_lshlrev_b32_e32 v32, 1, v35
	v_lshlrev_b32_e32 v35, 1, v36
	global_wb scope:SCOPE_SE
	s_wait_loadcnt_dscnt 0x0
	s_barrier_signal -1
	s_barrier_wait -1
	v_add3_u32 v32, v31, v32, v12
	v_add3_u32 v31, v34, v35, v12
	global_inv scope:SCOPE_SE
	v_lshrrev_b32_e32 v35, 16, v58
	v_lshrrev_b32_e32 v36, 16, v59
	;; [unrolled: 1-line block ×9, first 2 shown]
	v_mul_f16_e32 v54, v48, v35
	v_mul_f16_e32 v55, v47, v36
	;; [unrolled: 1-line block ×4, first 2 shown]
	v_lshrrev_b32_e32 v71, 16, v66
	v_lshrrev_b32_e32 v73, 16, v68
	v_mul_f16_e32 v51, v46, v49
	v_mul_f16_e32 v78, v26, v49
	;; [unrolled: 1-line block ×11, first 2 shown]
	v_fmac_f16_e32 v54, v30, v58
	v_fmac_f16_e32 v55, v28, v59
	v_lshrrev_b32_e32 v72, 16, v67
	v_mul_f16_e32 v76, v28, v36
	v_fmac_f16_e32 v53, v22, v57
	v_fmac_f16_e32 v56, v21, v60
	v_mul_f16_e32 v69, v24, v69
	v_mul_f16_e32 v70, v25, v70
	;; [unrolled: 1-line block ×6, first 2 shown]
	v_fmac_f16_e32 v51, v26, v61
	v_fmac_f16_e32 v49, v23, v62
	;; [unrolled: 1-line block ×4, first 2 shown]
	v_fma_f16 v42, v42, v57, -v74
	v_fma_f16 v30, v48, v58, -v75
	;; [unrolled: 1-line block ×3, first 2 shown]
	v_fmac_f16_e32 v34, v25, v65
	v_add_f16_e32 v25, v54, v55
	v_mul_f16_e32 v36, v44, v72
	v_fma_f16 v47, v47, v59, -v76
	v_fma_f16 v23, v40, v62, -v79
	v_add_f16_e32 v40, v53, v56
	v_mul_f16_e32 v72, v29, v72
	v_fma_f16 v26, v46, v61, -v78
	v_fma_f16 v28, v38, v63, -v80
	;; [unrolled: 1-line block ×4, first 2 shown]
	v_fmac_f16_e32 v35, v19, v66
	v_fma_f16 v19, v33, v66, -v71
	v_fma_f16 v22, v43, v68, -v73
	v_add_f16_e32 v24, v15, v53
	v_sub_f16_e32 v33, v53, v54
	v_sub_f16_e32 v38, v56, v55
	;; [unrolled: 1-line block ×4, first 2 shown]
	v_add_f16_e32 v45, v49, v50
	v_add_f16_e32 v60, v51, v52
	v_fmac_f16_e32 v37, v27, v68
	v_sub_f16_e32 v27, v42, v48
	v_fma_f16 v25, -0.5, v25, v15
	v_fmac_f16_e32 v36, v29, v67
	v_sub_f16_e32 v29, v30, v47
	v_sub_f16_e32 v58, v51, v49
	;; [unrolled: 1-line block ×3, first 2 shown]
	v_fmac_f16_e32 v15, -0.5, v40
	v_fma_f16 v21, v44, v67, -v72
	v_add_f16_e32 v44, v16, v51
	v_sub_f16_e32 v46, v26, v39
	v_sub_f16_e32 v57, v23, v28
	v_add_f16_e32 v24, v24, v54
	v_add_f16_e32 v33, v33, v38
	;; [unrolled: 1-line block ×3, first 2 shown]
	v_fma_f16 v41, -0.5, v45, v16
	v_fmac_f16_e32 v16, -0.5, v60
	v_fmamk_f16 v45, v27, 0xbb9c, v25
	v_add_f16_e32 v43, v58, v59
	v_fmamk_f16 v58, v29, 0x3b9c, v15
	v_fmac_f16_e32 v15, 0xbb9c, v29
	v_fmac_f16_e32 v25, 0x3b9c, v27
	v_sub_f16_e32 v61, v49, v51
	v_sub_f16_e32 v62, v50, v52
	v_add_f16_e32 v40, v44, v49
	v_add_f16_e32 v24, v24, v55
	v_fmamk_f16 v59, v46, 0xbb9c, v41
	v_fmac_f16_e32 v41, 0x3b9c, v46
	v_fmamk_f16 v60, v57, 0x3b9c, v16
	v_fmac_f16_e32 v16, 0xbb9c, v57
	v_fmac_f16_e32 v45, 0xb8b4, v29
	;; [unrolled: 1-line block ×5, first 2 shown]
	v_add_f16_e32 v44, v61, v62
	v_add_f16_e32 v40, v40, v50
	;; [unrolled: 1-line block ×3, first 2 shown]
	v_fmac_f16_e32 v59, 0xb8b4, v57
	v_fmac_f16_e32 v41, 0x38b4, v57
	;; [unrolled: 1-line block ×8, first 2 shown]
	v_add_f16_e32 v27, v40, v52
	v_fmac_f16_e32 v59, 0x34f2, v43
	v_fmac_f16_e32 v41, 0x34f2, v43
	;; [unrolled: 1-line block ×4, first 2 shown]
	ds_store_b16 v32, v24
	ds_store_b16 v32, v45 offset:26
	ds_store_b16 v32, v58 offset:52
	;; [unrolled: 1-line block ×4, first 2 shown]
	ds_store_b16 v31, v27
	ds_store_b16 v31, v59 offset:26
	ds_store_b16 v31, v60 offset:52
	;; [unrolled: 1-line block ×4, first 2 shown]
	s_and_saveexec_b32 s1, s0
	s_cbranch_execz .LBB0_18
; %bb.17:
	v_add_f16_e32 v15, v34, v37
	v_add_f16_e32 v27, v35, v36
	v_sub_f16_e32 v16, v35, v34
	v_sub_f16_e32 v24, v36, v37
	v_add_f16_e32 v38, v13, v34
	v_fma_f16 v15, -0.5, v15, v13
	v_sub_f16_e32 v29, v20, v22
	v_fma_f16 v13, -0.5, v27, v13
	v_sub_f16_e32 v25, v19, v21
	v_sub_f16_e32 v33, v34, v35
	;; [unrolled: 1-line block ×3, first 2 shown]
	v_add_f16_e32 v16, v16, v24
	v_add_f16_e32 v24, v38, v35
	v_fmamk_f16 v38, v29, 0x3b9c, v13
	v_fmac_f16_e32 v13, 0xbb9c, v29
	v_fmamk_f16 v27, v25, 0xbb9c, v15
	v_fmac_f16_e32 v15, 0x3b9c, v25
	v_add_f16_e32 v33, v33, v40
	v_add_f16_e32 v24, v24, v36
	v_mad_u32_u24 v40, 0x82, v10, 0
	v_fmac_f16_e32 v13, 0xb8b4, v25
	v_fmac_f16_e32 v15, 0xb8b4, v29
	;; [unrolled: 1-line block ×4, first 2 shown]
	v_add_f16_e32 v24, v24, v37
	v_add3_u32 v25, v40, v11, v12
	v_fmac_f16_e32 v13, 0x34f2, v33
	v_fmac_f16_e32 v15, 0x34f2, v16
	;; [unrolled: 1-line block ×4, first 2 shown]
	ds_store_b16 v25, v24
	ds_store_b16 v25, v13 offset:26
	ds_store_b16 v25, v15 offset:52
	ds_store_b16 v25, v27 offset:78
	ds_store_b16 v25, v38 offset:104
.LBB0_18:
	s_wait_alu 0xfffe
	s_or_b32 exec_lo, exec_lo, s1
	v_add_f16_e32 v13, v30, v47
	v_add_f16_e32 v15, v17, v42
	v_sub_f16_e32 v16, v53, v56
	v_sub_f16_e32 v24, v54, v55
	;; [unrolled: 1-line block ×3, first 2 shown]
	v_fma_f16 v25, -0.5, v13, v17
	v_sub_f16_e32 v13, v42, v30
	v_add_f16_e32 v29, v42, v48
	v_add_f16_e32 v15, v15, v30
	v_sub_f16_e32 v33, v49, v50
	v_fmamk_f16 v44, v16, 0x3b9c, v25
	v_fmac_f16_e32 v25, 0xbb9c, v16
	v_add_f16_e32 v13, v13, v27
	v_fmac_f16_e32 v17, -0.5, v29
	v_add_f16_e32 v15, v15, v47
	v_fmac_f16_e32 v44, 0x38b4, v24
	v_fmac_f16_e32 v25, 0xb8b4, v24
	v_add_f16_e32 v27, v23, v28
	v_fmamk_f16 v29, v24, 0xbb9c, v17
	v_add_f16_e32 v45, v15, v48
	v_fmac_f16_e32 v44, 0x34f2, v13
	v_fmac_f16_e32 v25, 0x34f2, v13
	v_sub_f16_e32 v13, v30, v42
	v_sub_f16_e32 v15, v47, v48
	v_fmac_f16_e32 v17, 0x3b9c, v24
	v_add_f16_e32 v24, v18, v26
	v_fmac_f16_e32 v29, 0x38b4, v16
	v_fma_f16 v27, -0.5, v27, v18
	v_add_f16_e32 v13, v13, v15
	v_fmac_f16_e32 v17, 0xb8b4, v16
	v_add_f16_e32 v15, v24, v23
	v_add_f16_e32 v24, v26, v39
	v_sub_f16_e32 v30, v51, v52
	v_fmac_f16_e32 v29, 0x34f2, v13
	v_fmac_f16_e32 v17, 0x34f2, v13
	v_add_f16_e32 v46, v15, v28
	v_fmac_f16_e32 v18, -0.5, v24
	v_sub_f16_e32 v13, v26, v23
	v_sub_f16_e32 v15, v39, v28
	v_fmamk_f16 v16, v30, 0x3b9c, v27
	v_fmac_f16_e32 v27, 0xbb9c, v30
	v_fmamk_f16 v47, v33, 0xbb9c, v18
	v_sub_f16_e32 v23, v23, v26
	v_sub_f16_e32 v24, v28, v39
	v_fmac_f16_e32 v18, 0x3b9c, v33
	v_add_f16_e32 v48, v13, v15
	v_add3_u32 v15, 0, v0, v12
	v_fmac_f16_e32 v16, 0x38b4, v33
	v_fmac_f16_e32 v27, 0xb8b4, v33
	v_fmac_f16_e32 v47, 0x38b4, v30
	v_add_f16_e32 v49, v23, v24
	v_fmac_f16_e32 v18, 0xb8b4, v30
	global_wb scope:SCOPE_SE
	s_wait_dscnt 0x0
	s_barrier_signal -1
	s_barrier_wait -1
	global_inv scope:SCOPE_SE
	ds_load_u16 v33, v15
	ds_load_u16 v0, v5
	ds_load_u16 v23, v7 offset:390
	ds_load_u16 v24, v7 offset:520
	;; [unrolled: 1-line block ×9, first 2 shown]
	ds_load_u16 v42, v8
	ds_load_u16 v43, v7 offset:1560
	v_add_f16_e32 v39, v46, v39
	v_fmac_f16_e32 v16, 0x34f2, v48
	v_fmac_f16_e32 v27, 0x34f2, v48
	;; [unrolled: 1-line block ×4, first 2 shown]
	global_wb scope:SCOPE_SE
	s_wait_dscnt 0x0
	s_barrier_signal -1
	s_barrier_wait -1
	global_inv scope:SCOPE_SE
	ds_store_b16 v32, v45
	ds_store_b16 v32, v44 offset:26
	ds_store_b16 v32, v29 offset:52
	;; [unrolled: 1-line block ×4, first 2 shown]
	ds_store_b16 v31, v39
	ds_store_b16 v31, v16 offset:26
	ds_store_b16 v31, v47 offset:52
	;; [unrolled: 1-line block ×4, first 2 shown]
	s_and_saveexec_b32 s1, s0
	s_cbranch_execz .LBB0_20
; %bb.19:
	v_add_f16_e32 v17, v19, v21
	v_add_f16_e32 v27, v20, v22
	;; [unrolled: 1-line block ×3, first 2 shown]
	v_sub_f16_e32 v18, v34, v37
	v_sub_f16_e32 v25, v35, v36
	v_fma_f16 v17, -0.5, v17, v14
	v_sub_f16_e32 v29, v20, v19
	v_sub_f16_e32 v31, v22, v21
	v_fmac_f16_e32 v14, -0.5, v27
	v_add_f16_e32 v16, v16, v19
	v_fmamk_f16 v27, v18, 0x3b9c, v17
	v_sub_f16_e32 v19, v19, v20
	v_add_f16_e32 v29, v29, v31
	v_fmamk_f16 v31, v25, 0xbb9c, v14
	v_sub_f16_e32 v20, v21, v22
	v_fmac_f16_e32 v14, 0x3b9c, v25
	v_fmac_f16_e32 v17, 0xbb9c, v18
	v_add_f16_e32 v16, v16, v21
	v_mad_u32_u24 v10, 0x82, v10, 0
	v_fmac_f16_e32 v27, 0x38b4, v25
	v_fmac_f16_e32 v31, 0x38b4, v18
	v_add_f16_e32 v19, v19, v20
	v_fmac_f16_e32 v14, 0xb8b4, v18
	v_fmac_f16_e32 v17, 0xb8b4, v25
	v_add_f16_e32 v16, v16, v22
	v_add3_u32 v10, v10, v11, v12
	v_fmac_f16_e32 v27, 0x34f2, v29
	v_fmac_f16_e32 v31, 0x34f2, v19
	;; [unrolled: 1-line block ×4, first 2 shown]
	ds_store_b16 v10, v16
	ds_store_b16 v10, v27 offset:26
	ds_store_b16 v10, v31 offset:52
	;; [unrolled: 1-line block ×4, first 2 shown]
.LBB0_20:
	s_wait_alu 0xfffe
	s_or_b32 exec_lo, exec_lo, s1
	global_wb scope:SCOPE_SE
	s_wait_dscnt 0x0
	s_barrier_signal -1
	s_barrier_wait -1
	global_inv scope:SCOPE_SE
	s_and_saveexec_b32 s0, vcc_lo
	s_cbranch_execz .LBB0_22
; %bb.21:
	v_mul_u32_u24_e32 v9, 12, v9
	v_mul_lo_u32 v16, s2, v4
	s_delay_alu instid0(VALU_DEP_2)
	v_lshlrev_b32_e32 v14, 2, v9
	s_clause 0x2
	global_load_b128 v[9:12], v14, s[8:9] offset:240
	global_load_b128 v[44:47], v14, s[8:9] offset:208
	;; [unrolled: 1-line block ×3, first 2 shown]
	ds_load_u16 v22, v15
	ds_load_u16 v8, v8
	ds_load_u16 v18, v7 offset:1560
	ds_load_u16 v20, v7 offset:1430
	;; [unrolled: 1-line block ×3, first 2 shown]
	ds_load_u16 v5, v5
	ds_load_u16 v37, v7 offset:390
	ds_load_u16 v39, v7 offset:520
	;; [unrolled: 1-line block ×7, first 2 shown]
	v_mul_lo_u32 v14, s3, v3
	v_mad_co_u64_u32 v[3:4], null, s2, v3, 0
	s_delay_alu instid0(VALU_DEP_1) | instskip(NEXT) | instid1(VALU_DEP_1)
	v_add3_u32 v4, v4, v16, v14
	v_lshlrev_b64_e32 v[3:4], 2, v[3:4]
	s_wait_loadcnt 0x2
	v_lshrrev_b32_e32 v16, 16, v11
	v_lshrrev_b32_e32 v15, 16, v12
	s_wait_loadcnt 0x1
	v_lshrrev_b32_e32 v19, 16, v44
	v_lshrrev_b32_e32 v21, 16, v45
	;; [unrolled: 1-line block ×6, first 2 shown]
	s_wait_loadcnt 0x0
	v_lshrrev_b32_e32 v29, 16, v48
	v_lshrrev_b32_e32 v36, 16, v49
	;; [unrolled: 1-line block ×4, first 2 shown]
	v_mul_f16_e32 v58, v43, v15
	v_mul_f16_e32 v59, v42, v19
	s_wait_dscnt 0xb
	v_mul_f16_e32 v60, v8, v19
	v_mul_f16_e32 v61, v41, v16
	v_mul_f16_e32 v62, v33, v21
	s_wait_dscnt 0xa
	v_mul_f16_e32 v15, v18, v15
	v_mul_f16_e32 v35, v22, v21
	s_wait_dscnt 0x9
	v_mul_f16_e32 v16, v20, v16
	v_mul_f16_e32 v63, v40, v17
	;; [unrolled: 1-line block ×3, first 2 shown]
	s_wait_dscnt 0x6
	v_mul_f16_e32 v32, v37, v25
	v_mul_f16_e32 v17, v34, v17
	;; [unrolled: 1-line block ×4, first 2 shown]
	s_wait_dscnt 0x5
	v_mul_f16_e32 v31, v39, v27
	s_wait_dscnt 0x3
	v_mul_f16_e32 v19, v53, v14
	v_mul_f16_e32 v14, v28, v57
	;; [unrolled: 1-line block ×4, first 2 shown]
	s_wait_dscnt 0x2
	v_mul_f16_e32 v21, v54, v57
	v_mul_f16_e32 v57, v13, v56
	;; [unrolled: 1-line block ×3, first 2 shown]
	s_wait_dscnt 0x0
	v_mul_f16_e32 v27, v7, v36
	v_mul_f16_e32 v25, v55, v56
	v_fma_f16 v18, v18, v12, -v58
	v_fma_f16 v56, v8, v44, -v59
	v_fmac_f16_e32 v60, v42, v44
	v_fma_f16 v20, v20, v11, -v61
	v_fma_f16 v36, v22, v45, -v62
	v_fmac_f16_e32 v15, v43, v12
	v_fmac_f16_e32 v35, v33, v45
	;; [unrolled: 1-line block ×3, first 2 shown]
	v_fma_f16 v33, v39, v47, -v66
	v_fmac_f16_e32 v29, v26, v48
	v_fmac_f16_e32 v21, v28, v51
	v_fma_f16 v26, v55, v50, -v57
	v_fma_f16 v28, v7, v49, -v68
	v_fmac_f16_e32 v27, v38, v49
	v_fmac_f16_e32 v25, v13, v50
	v_add_f16_e32 v39, v18, v56
	v_add_f16_e32 v40, v20, v36
	v_sub_f16_e32 v43, v56, v18
	v_sub_f16_e32 v44, v36, v20
	v_add_f16_e32 v49, v0, v60
	v_add_f16_e32 v50, v5, v56
	v_fmac_f16_e32 v16, v41, v11
	v_fma_f16 v22, v34, v10, -v63
	v_fma_f16 v34, v37, v46, -v64
	v_fmac_f16_e32 v32, v23, v46
	v_fmac_f16_e32 v31, v24, v47
	;; [unrolled: 1-line block ×3, first 2 shown]
	v_fma_f16 v24, v54, v51, -v14
	v_fma_f16 v30, v52, v48, -v67
	v_sub_f16_e32 v14, v60, v15
	v_add_f16_e32 v11, v15, v60
	v_mul_f16_e32 v55, 0xbbc4, v39
	v_mul_f16_e32 v56, 0x3b15, v40
	;; [unrolled: 1-line block ×24, first 2 shown]
	v_add_f16_e32 v43, v49, v35
	v_add_f16_e32 v44, v50, v36
	v_fma_f16 v23, v53, v9, -v65
	v_sub_f16_e32 v13, v35, v16
	v_add_f16_e32 v38, v22, v34
	v_sub_f16_e32 v12, v32, v17
	v_add_f16_e32 v10, v16, v35
	v_add_f16_e32 v9, v17, v32
	v_sub_f16_e32 v42, v34, v22
	v_fmamk_f16 v106, v14, 0x33a8, v55
	v_fmamk_f16 v108, v11, 0xbbc4, v59
	;; [unrolled: 1-line block ×3, first 2 shown]
	v_add_f16_e32 v32, v43, v32
	v_add_f16_e32 v34, v44, v34
	v_fmac_f16_e32 v69, 0xbb7b, v14
	v_add_f16_e32 v37, v23, v33
	v_sub_f16_e32 v7, v31, v19
	v_add_f16_e32 v8, v19, v31
	v_sub_f16_e32 v41, v33, v23
	v_mul_f16_e32 v57, 0xb9fd, v38
	v_mul_f16_e32 v61, 0xb94e, v42
	v_fmamk_f16 v107, v13, 0xb770, v56
	v_fmamk_f16 v109, v10, 0x3b15, v60
	;; [unrolled: 1-line block ×6, first 2 shown]
	v_add_f16_e32 v31, v32, v31
	v_fmamk_f16 v32, v14, 0x3bf1, v73
	v_add_f16_e32 v106, v5, v106
	v_add_f16_e32 v33, v34, v33
	;; [unrolled: 1-line block ×4, first 2 shown]
	v_fmac_f16_e32 v70, 0x394e, v13
	v_add_f16_e32 v69, v5, v69
	v_sub_f16_e32 v48, v29, v21
	v_add_f16_e32 v46, v21, v29
	v_mul_f16_e32 v49, 0xba95, v42
	v_mul_f16_e32 v50, 0x3b15, v38
	v_fmamk_f16 v111, v13, 0xbbf1, v64
	v_fmamk_f16 v113, v10, 0x2fb7, v68
	;; [unrolled: 1-line block ×4, first 2 shown]
	v_add_f16_e32 v110, v5, v110
	v_add_f16_e32 v106, v106, v107
	v_fmamk_f16 v107, v11, 0x2fb7, v75
	v_add_f16_e32 v34, v34, v109
	v_add_f16_e32 v112, v0, v112
	v_add_f16_e32 v115, v0, v115
	v_add_f16_e32 v32, v5, v32
	v_add_f16_e32 v43, v114, v43
	v_fmamk_f16 v114, v11, 0x388b, v79
	v_add_f16_e32 v69, v69, v70
	v_fmamk_f16 v70, v12, 0x394e, v57
	v_add_f16_e32 v29, v31, v29
	v_fmamk_f16 v31, v9, 0xb9fd, v61
	v_mul_f16_e32 v84, 0xb5ac, v38
	v_mul_f16_e32 v85, 0x3b7b, v42
	v_fmamk_f16 v109, v10, 0xbbc4, v76
	v_add_f16_e32 v110, v110, v111
	v_fmamk_f16 v111, v14, 0x3a95, v77
	v_add_f16_e32 v112, v112, v113
	v_add_f16_e32 v44, v115, v44
	v_fmamk_f16 v115, v10, 0xb5ac, v80
	v_add_f16_e32 v107, v0, v107
	;; [unrolled: 3-line block ×4, first 2 shown]
	v_fmamk_f16 v34, v12, 0xb770, v50
	v_add_f16_e32 v51, v24, v30
	v_sub_f16_e32 v54, v30, v24
	v_mul_f16_e32 v86, 0xbbc4, v38
	v_mul_f16_e32 v87, 0xb3a8, v42
	v_fmamk_f16 v113, v13, 0x3b7b, v78
	v_add_f16_e32 v111, v5, v111
	v_add_f16_e32 v107, v107, v109
	v_fmamk_f16 v109, v13, 0x3a95, v82
	v_add_f16_e32 v108, v5, v108
	v_add_f16_e32 v114, v114, v115
	v_fmamk_f16 v115, v11, 0x3b15, v40
	v_fmac_f16_e32 v55, 0xb3a8, v14
	v_add_f16_e32 v30, v33, v30
	v_add_f16_e32 v106, v112, v106
	v_fmamk_f16 v112, v12, 0xbb7b, v84
	v_add_f16_e32 v34, v43, v34
	v_fmamk_f16 v43, v9, 0xb5ac, v85
	v_sub_f16_e32 v47, v27, v25
	v_add_f16_e32 v45, v25, v27
	v_add_f16_e32 v52, v26, v28
	v_sub_f16_e32 v53, v28, v26
	v_mul_f16_e32 v65, 0x388b, v38
	v_mul_f16_e32 v38, 0x2fb7, v38
	;; [unrolled: 1-line block ×3, first 2 shown]
	v_add_f16_e32 v111, v111, v113
	v_add_f16_e32 v108, v108, v109
	v_fmamk_f16 v109, v10, 0x388b, v39
	v_fma_f16 v59, v11, 0xbbc4, -v59
	v_add_f16_e32 v115, v0, v115
	v_fmac_f16_e32 v56, 0x3770, v13
	v_add_f16_e32 v55, v5, v55
	v_fmac_f16_e32 v63, 0xb94e, v14
	v_add_f16_e32 v32, v32, v112
	v_fmamk_f16 v112, v12, 0x33a8, v86
	v_add_f16_e32 v43, v107, v43
	v_fmamk_f16 v107, v9, 0xbbc4, v87
	v_add_f16_e32 v27, v29, v27
	v_add_f16_e32 v28, v30, v28
	v_mul_f16_e32 v58, 0x388b, v37
	v_mul_f16_e32 v62, 0x3a95, v41
	;; [unrolled: 1-line block ×3, first 2 shown]
	v_fma_f16 v60, v10, 0x3b15, -v60
	v_add_f16_e32 v59, v0, v59
	v_add_f16_e32 v109, v115, v109
	v_add_f16_e32 v55, v55, v56
	v_fma_f16 v67, v11, 0xb9fd, -v67
	v_fmac_f16_e32 v64, 0x3bf1, v13
	v_add_f16_e32 v63, v5, v63
	v_fmamk_f16 v33, v12, 0x3a95, v65
	v_add_f16_e32 v111, v111, v112
	v_fmamk_f16 v112, v12, 0x3bf1, v38
	;; [unrolled: 2-line block ×3, first 2 shown]
	v_fmac_f16_e32 v57, 0xb94e, v12
	v_add_f16_e32 v25, v25, v27
	v_add_f16_e32 v26, v26, v28
	v_mul_f16_e32 v83, 0x3770, v42
	v_mul_f16_e32 v42, 0x33a8, v41
	v_mul_f16_e32 v88, 0x2fb7, v37
	v_mul_f16_e32 v90, 0x3b15, v37
	v_mul_f16_e32 v91, 0x3770, v41
	v_mul_f16_e32 v92, 0xb9fd, v37
	v_mul_f16_e32 v93, 0x394e, v41
	v_mul_f16_e32 v37, 0xb5ac, v37
	v_mul_f16_e32 v35, 0xbb7b, v41
	v_add_f16_e32 v59, v59, v60
	v_fma_f16 v68, v10, 0x2fb7, -v68
	v_add_f16_e32 v67, v0, v67
	v_add_f16_e32 v63, v63, v64
	;; [unrolled: 1-line block ×3, first 2 shown]
	v_fma_f16 v61, v9, 0xb9fd, -v61
	v_fmac_f16_e32 v65, 0xba95, v12
	v_fmac_f16_e32 v50, 0x3770, v12
	v_add_f16_e32 v108, v108, v112
	v_fmamk_f16 v112, v7, 0xba95, v58
	v_add_f16_e32 v109, v109, v114
	v_fmamk_f16 v114, v8, 0x388b, v62
	;; [unrolled: 2-line block ×3, first 2 shown]
	v_add_f16_e32 v21, v21, v25
	v_add_f16_e32 v24, v24, v26
	v_mul_f16_e32 v89, 0xbbf1, v41
	v_mul_f16_e32 v41, 0xb5ac, v51
	;; [unrolled: 1-line block ×10, first 2 shown]
	v_add_f16_e32 v67, v67, v68
	v_fma_f16 v49, v9, 0x388b, -v49
	v_add_f16_e32 v59, v59, v61
	v_fmamk_f16 v61, v8, 0xbbc4, v42
	v_add_f16_e32 v63, v63, v65
	v_fmamk_f16 v65, v7, 0x3bf1, v88
	;; [unrolled: 2-line block ×3, first 2 shown]
	v_fmamk_f16 v29, v8, 0x3b15, v91
	v_fmamk_f16 v30, v7, 0xb94e, v92
	v_add_f16_e32 v70, v70, v112
	v_fmamk_f16 v112, v8, 0xb9fd, v93
	v_add_f16_e32 v31, v31, v114
	;; [unrolled: 2-line block ×3, first 2 shown]
	v_fmamk_f16 v57, v8, 0xb5ac, v35
	v_fma_f16 v62, v8, 0x388b, -v62
	v_add_f16_e32 v19, v19, v21
	v_add_f16_e32 v21, v23, v24
	v_mul_f16_e32 v103, 0x2fb7, v52
	v_mul_f16_e32 v104, 0x3bf1, v53
	;; [unrolled: 1-line block ×7, first 2 shown]
	v_fmamk_f16 v110, v9, 0x3b15, v83
	v_mul_f16_e32 v52, 0xbbc4, v52
	v_add_f16_e32 v49, v67, v49
	v_fmac_f16_e32 v66, 0x33a8, v7
	v_fma_f16 v42, v8, 0xbbc4, -v42
	v_fmac_f16_e32 v88, 0xbbf1, v7
	v_add_f16_e32 v61, v106, v61
	v_add_f16_e32 v34, v34, v65
	v_fmamk_f16 v65, v46, 0xb5ac, v94
	v_add_f16_e32 v32, v32, v69
	v_fmamk_f16 v69, v46, 0x3b15, v96
	;; [unrolled: 2-line block ×3, first 2 shown]
	v_add_f16_e32 v30, v111, v30
	v_add_f16_e32 v107, v107, v112
	v_fmamk_f16 v112, v48, 0x3a95, v99
	v_add_f16_e32 v108, v108, v114
	v_fmamk_f16 v114, v46, 0x388b, v100
	;; [unrolled: 2-line block ×3, first 2 shown]
	v_fmamk_f16 v28, v48, 0x394e, v51
	v_fma_f16 v94, v46, 0xb5ac, -v94
	v_add_f16_e32 v59, v59, v62
	v_add_f16_e32 v17, v17, v19
	;; [unrolled: 1-line block ×3, first 2 shown]
	v_mul_f16_e32 v113, 0xbb7b, v53
	v_add_f16_e32 v44, v44, v110
	v_fmamk_f16 v67, v8, 0x2fb7, v89
	v_fmac_f16_e32 v58, 0x3a95, v7
	v_fmamk_f16 v106, v48, 0x3b7b, v41
	v_add_f16_e32 v63, v63, v66
	v_fmamk_f16 v66, v45, 0x2fb7, v104
	v_add_f16_e32 v42, v49, v42
	v_add_f16_e32 v50, v50, v88
	;; [unrolled: 1-line block ×3, first 2 shown]
	v_fmamk_f16 v69, v45, 0xb9fd, v64
	v_add_f16_e32 v34, v34, v43
	v_fmamk_f16 v43, v47, 0xb770, v68
	v_add_f16_e32 v32, v32, v112
	;; [unrolled: 2-line block ×3, first 2 shown]
	v_fma_f16 v104, v45, 0x2fb7, -v104
	v_fma_f16 v71, v11, 0xb5ac, -v71
	;; [unrolled: 1-line block ×3, first 2 shown]
	v_add_f16_e32 v30, v30, v109
	v_add_f16_e32 v28, v108, v28
	;; [unrolled: 1-line block ×5, first 2 shown]
	v_fmac_f16_e32 v97, 0x33a8, v48
	v_add_f16_e32 v44, v44, v67
	v_fmamk_f16 v67, v48, 0xb770, v95
	v_add_f16_e32 v55, v55, v58
	v_fmac_f16_e32 v41, 0xbb7b, v48
	v_fmac_f16_e32 v95, 0x3770, v48
	v_add_f16_e32 v70, v70, v106
	v_fmamk_f16 v106, v47, 0xba95, v115
	v_add_f16_e32 v24, v29, v69
	v_add_f16_e32 v29, v30, v43
	;; [unrolled: 1-line block ×7, first 2 shown]
	v_fma_f16 v18, v10, 0xb9fd, -v72
	v_add_f16_e32 v26, v42, v96
	v_fma_f16 v28, v45, 0xb5ac, -v113
	v_add_f16_e32 v30, v50, v97
	v_fmac_f16_e32 v115, 0x3a95, v47
	v_fmamk_f16 v62, v47, 0xbbf1, v103
	v_fmamk_f16 v49, v47, 0x3b7b, v105
	v_add_f16_e32 v33, v33, v67
	v_fmamk_f16 v67, v47, 0x394e, v60
	v_fmac_f16_e32 v103, 0x3bf1, v47
	v_fmac_f16_e32 v105, 0xbb7b, v47
	v_add_f16_e32 v25, v55, v41
	v_add_f16_e32 v41, v63, v95
	;; [unrolled: 1-line block ×3, first 2 shown]
	v_fma_f16 v18, v9, 0x3b15, -v83
	v_add_f16_e32 v26, v26, v28
	v_fmac_f16_e32 v73, 0xbbf1, v14
	v_add_f16_e32 v28, v30, v115
	v_fma_f16 v30, v11, 0x2fb7, -v75
	v_mul_f16_e32 v98, 0x33a8, v54
	v_add_f16_e32 v23, v32, v67
	v_add_f16_e32 v19, v25, v103
	;; [unrolled: 1-line block ×4, first 2 shown]
	v_fma_f16 v18, v8, 0x2fb7, -v89
	v_add_f16_e32 v32, v5, v73
	v_fmac_f16_e32 v74, 0xb3a8, v13
	v_add_f16_e32 v30, v0, v30
	v_fma_f16 v41, v10, 0xbbc4, -v76
	v_mul_f16_e32 v56, 0x3a95, v53
	v_add_f16_e32 v17, v17, v18
	v_fma_f16 v18, v46, 0xbbc4, -v98
	v_add_f16_e32 v32, v32, v74
	v_fmac_f16_e32 v84, 0x3b7b, v12
	v_add_f16_e32 v30, v30, v41
	v_fma_f16 v41, v9, 0xb5ac, -v85
	v_add_f16_e32 v17, v17, v18
	v_fma_f16 v18, v45, 0x388b, -v56
	v_add_f16_e32 v32, v32, v84
	v_fmac_f16_e32 v90, 0x3770, v7
	v_add_f16_e32 v30, v30, v41
	v_fma_f16 v41, v8, 0x3b15, -v91
	v_fmac_f16_e32 v77, 0xba95, v14
	v_add_f16_e32 v17, v17, v18
	v_add_f16_e32 v18, v32, v90
	v_fma_f16 v32, v46, 0x388b, -v100
	v_add_f16_e32 v30, v30, v41
	v_add_f16_e32 v41, v5, v77
	v_fmac_f16_e32 v78, 0xbb7b, v13
	v_fmac_f16_e32 v86, 0xb3a8, v12
	v_fma_f16 v42, v11, 0x388b, -v79
	v_add_f16_e32 v30, v30, v32
	v_fma_f16 v32, v45, 0xb9fd, -v64
	v_add_f16_e32 v41, v41, v78
	v_fma_f16 v11, v11, 0x3b15, -v40
	v_fmac_f16_e32 v81, 0xb770, v14
	v_fmac_f16_e32 v92, 0x394e, v7
	v_add_f16_e32 v30, v30, v32
	v_add_f16_e32 v14, v41, v86
	;; [unrolled: 1-line block ×3, first 2 shown]
	v_fma_f16 v41, v10, 0xb5ac, -v80
	v_fmac_f16_e32 v37, 0xbb7b, v7
	v_add_f16_e32 v0, v0, v11
	v_fma_f16 v7, v10, 0x388b, -v39
	v_fmac_f16_e32 v82, 0xba95, v13
	v_add_f16_e32 v13, v14, v92
	v_add_f16_e32 v14, v32, v41
	v_fma_f16 v32, v9, 0xbbc4, -v87
	v_add_f16_e32 v0, v0, v7
	v_fma_f16 v7, v9, 0x2fb7, -v36
	v_mad_co_u64_u32 v[9:10], null, s16, v6, 0
	v_add_f16_e32 v5, v5, v81
	v_mul_f16_e32 v102, 0x3bf1, v54
	v_fmac_f16_e32 v38, 0xbbf1, v12
	v_add_f16_e32 v12, v14, v32
	v_fma_f16 v14, v8, 0xb9fd, -v93
	v_add_f16_e32 v5, v5, v82
	v_add_f16_e32 v7, v0, v7
	v_fma_f16 v8, v8, 0xb5ac, -v35
	v_dual_mov_b32 v0, v10 :: v_dual_add_nc_u32 v35, 0x41, v6
	v_add_f16_e32 v11, v12, v14
	v_fma_f16 v12, v46, 0x2fb7, -v102
	v_mul_f16_e32 v54, 0xb94e, v54
	v_fmac_f16_e32 v101, 0x3bf1, v48
	v_add_f16_e32 v5, v5, v38
	v_add_f16_e32 v10, v7, v8
	;; [unrolled: 1-line block ×3, first 2 shown]
	v_mad_co_u64_u32 v[11:12], null, s16, v35, 0
	v_mad_co_u64_u32 v[7:8], null, s17, v6, v[0:1]
	v_add_f16_e32 v13, v13, v101
	v_fmac_f16_e32 v68, 0x3770, v47
	v_add_f16_e32 v5, v5, v37
	v_fmac_f16_e32 v51, 0xb94e, v48
	v_fma_f16 v36, v46, 0xb9fd, -v54
	v_lshlrev_b64_e32 v[1:2], 2, v[1:2]
	v_mov_b32_e32 v0, v12
	v_fmac_f16_e32 v52, 0xb3a8, v47
	v_add_f16_e32 v5, v5, v51
	v_add_f16_e32 v37, v13, v68
	;; [unrolled: 1-line block ×3, first 2 shown]
	v_add_nc_u32_e32 v36, 0x82, v6
	v_mov_b32_e32 v10, v7
	v_add_co_u32 v7, vcc_lo, s6, v3
	s_wait_alu 0xfffd
	v_add_co_ci_u32_e32 v8, vcc_lo, s7, v4, vcc_lo
	v_mad_co_u64_u32 v[3:4], null, s17, v35, v[0:1]
	v_add_f16_e32 v38, v5, v52
	v_mad_co_u64_u32 v[4:5], null, s16, v36, 0
	v_add_co_u32 v35, vcc_lo, v7, v1
	s_wait_alu 0xfffd
	v_add_co_ci_u32_e32 v39, vcc_lo, v8, v2, vcc_lo
	v_mov_b32_e32 v12, v3
	v_add_nc_u32_e32 v40, 0xc3, v6
	v_mov_b32_e32 v2, v5
	v_mul_f16_e32 v110, 0x3770, v53
	v_mul_f16_e32 v53, 0xb3a8, v53
	v_fmamk_f16 v111, v46, 0xbbc4, v98
	v_fmamk_f16 v27, v46, 0x2fb7, v102
	v_mad_co_u64_u32 v[2:3], null, s17, v36, v[2:3]
	v_fmamk_f16 v58, v46, 0xb9fd, v54
	v_mad_co_u64_u32 v[7:8], null, s16, v40, 0
	v_fma_f16 v32, v45, 0x3b15, -v110
	v_add_f16_e32 v44, v44, v111
	v_fmamk_f16 v111, v45, 0x3b15, v110
	v_mov_b32_e32 v5, v2
	v_lshlrev_b64_e32 v[0:1], 2, v[9:10]
	v_fmamk_f16 v114, v45, 0xbbc4, v53
	v_add_f16_e32 v27, v107, v27
	v_add_f16_e32 v57, v57, v58
	v_lshlrev_b64_e32 v[9:10], 2, v[11:12]
	v_mov_b32_e32 v3, v8
	v_add_co_u32 v0, vcc_lo, v35, v0
	v_add_f16_e32 v32, v14, v32
	v_fma_f16 v14, v45, 0xbbc4, -v53
	v_add_f16_e32 v21, v27, v111
	v_add_f16_e32 v27, v57, v114
	s_wait_alu 0xfffd
	v_add_co_ci_u32_e32 v1, vcc_lo, v39, v1, vcc_lo
	v_add_co_u32 v8, vcc_lo, v35, v9
	s_wait_alu 0xfffd
	v_add_co_ci_u32_e32 v9, vcc_lo, v39, v10, vcc_lo
	v_mad_co_u64_u32 v[10:11], null, s17, v40, v[3:4]
	v_pack_b32_f16 v12, v15, v16
	v_add_f16_e32 v16, v13, v14
	v_add_nc_u32_e32 v11, 0x104, v6
	v_add_nc_u32_e32 v13, 0x145, v6
	v_pack_b32_f16 v15, v27, v22
	s_clause 0x1
	global_store_b32 v[0:1], v12, off
	global_store_b32 v[8:9], v15, off
	v_add_nc_u32_e32 v15, 0x186, v6
	v_lshlrev_b64_e32 v[0:1], 2, v[4:5]
	v_mad_co_u64_u32 v[2:3], null, s16, v11, 0
	v_mad_co_u64_u32 v[4:5], null, s16, v13, 0
	v_mov_b32_e32 v8, v10
	v_mad_co_u64_u32 v[9:10], null, s16, v15, 0
	v_add_co_u32 v0, vcc_lo, v35, v0
	s_wait_alu 0xfffd
	v_add_co_ci_u32_e32 v1, vcc_lo, v39, v1, vcc_lo
	v_mad_co_u64_u32 v[11:12], null, s17, v11, v[3:4]
	v_mad_co_u64_u32 v[12:13], null, s17, v13, v[5:6]
	v_pack_b32_f16 v14, v21, v29
	v_pack_b32_f16 v13, v24, v23
	v_fmamk_f16 v88, v45, 0xb5ac, v113
	v_add_f16_e32 v31, v31, v65
	v_mov_b32_e32 v3, v11
	v_mad_co_u64_u32 v[10:11], null, s17, v15, v[10:11]
	v_add_nc_u32_e32 v11, 0x1c7, v6
	v_lshlrev_b64_e32 v[7:8], 2, v[7:8]
	v_mov_b32_e32 v5, v12
	global_store_b32 v[0:1], v14, off
	v_lshlrev_b64_e32 v[0:1], 2, v[2:3]
	v_fmamk_f16 v65, v45, 0x388b, v56
	v_add_f16_e32 v55, v70, v62
	v_add_co_u32 v7, vcc_lo, v35, v7
	s_wait_alu 0xfffd
	v_add_co_ci_u32_e32 v8, vcc_lo, v39, v8, vcc_lo
	v_lshlrev_b64_e32 v[2:3], 2, v[4:5]
	v_mad_co_u64_u32 v[4:5], null, s16, v11, 0
	global_store_b32 v[7:8], v13, off
	v_add_co_u32 v0, vcc_lo, v35, v0
	v_lshlrev_b64_e32 v[7:8], 2, v[9:10]
	s_wait_alu 0xfffd
	v_add_co_ci_u32_e32 v1, vcc_lo, v39, v1, vcc_lo
	v_add_f16_e32 v31, v31, v66
	v_add_f16_e32 v33, v33, v49
	;; [unrolled: 1-line block ×5, first 2 shown]
	v_add_co_u32 v2, vcc_lo, v35, v2
	s_wait_alu 0xfffd
	v_add_co_ci_u32_e32 v3, vcc_lo, v39, v3, vcc_lo
	v_mad_co_u64_u32 v[9:10], null, s17, v11, v[5:6]
	v_add_co_u32 v7, vcc_lo, v35, v7
	v_pack_b32_f16 v12, v44, v34
	v_pack_b32_f16 v10, v49, v33
	s_wait_alu 0xfffd
	v_add_co_ci_u32_e32 v8, vcc_lo, v39, v8, vcc_lo
	v_pack_b32_f16 v11, v31, v55
	global_store_b32 v[0:1], v12, off
	v_mov_b32_e32 v5, v9
	global_store_b32 v[2:3], v10, off
	v_add_nc_u32_e32 v9, 0x208, v6
	global_store_b32 v[7:8], v11, off
	v_add_nc_u32_e32 v11, 0x249, v6
	v_add_nc_u32_e32 v13, 0x28a, v6
	v_lshlrev_b64_e32 v[0:1], 2, v[4:5]
	v_mad_co_u64_u32 v[2:3], null, s16, v9, 0
	s_delay_alu instid0(VALU_DEP_4) | instskip(NEXT) | instid1(VALU_DEP_4)
	v_mad_co_u64_u32 v[4:5], null, s16, v11, 0
	v_mad_co_u64_u32 v[7:8], null, s16, v13, 0
	v_add_nc_u32_e32 v15, 0x2cb, v6
	v_add_co_u32 v0, vcc_lo, v35, v0
	s_wait_alu 0xfffd
	v_add_co_ci_u32_e32 v1, vcc_lo, v39, v1, vcc_lo
	v_mad_co_u64_u32 v[9:10], null, s17, v9, v[3:4]
	v_mad_co_u64_u32 v[10:11], null, s17, v11, v[5:6]
	v_mov_b32_e32 v5, v8
	v_mad_co_u64_u32 v[11:12], null, s16, v15, 0
	v_pack_b32_f16 v14, v20, v19
	v_mov_b32_e32 v3, v9
	s_delay_alu instid0(VALU_DEP_4)
	v_mad_co_u64_u32 v[8:9], null, s17, v13, v[5:6]
	v_add_nc_u32_e32 v13, 0x30c, v6
	v_mov_b32_e32 v5, v10
	global_store_b32 v[0:1], v14, off
	v_lshlrev_b64_e32 v[0:1], 2, v[2:3]
	v_mov_b32_e32 v2, v12
	v_mad_co_u64_u32 v[9:10], null, s16, v13, 0
	v_lshlrev_b64_e32 v[4:5], 2, v[4:5]
	v_fmac_f16_e32 v99, 0xba95, v48
	s_delay_alu instid0(VALU_DEP_4)
	v_mad_co_u64_u32 v[2:3], null, s17, v15, v[2:3]
	v_add_co_u32 v0, vcc_lo, v35, v0
	v_mov_b32_e32 v3, v10
	s_wait_alu 0xfffd
	v_add_co_ci_u32_e32 v1, vcc_lo, v39, v1, vcc_lo
	v_lshlrev_b64_e32 v[6:7], 2, v[7:8]
	v_mov_b32_e32 v12, v2
	v_mad_co_u64_u32 v[13:14], null, s17, v13, v[3:4]
	v_add_co_u32 v2, vcc_lo, v35, v4
	v_add_f16_e32 v18, v18, v99
	v_fmac_f16_e32 v60, 0xb94e, v47
	s_wait_alu 0xfffd
	v_add_co_ci_u32_e32 v3, vcc_lo, v39, v5, vcc_lo
	v_mov_b32_e32 v10, v13
	v_lshlrev_b64_e32 v[4:5], 2, v[11:12]
	v_add_co_u32 v6, vcc_lo, v35, v6
	v_add_f16_e32 v18, v18, v60
	s_delay_alu instid0(VALU_DEP_4)
	v_lshlrev_b64_e32 v[8:9], 2, v[9:10]
	s_wait_alu 0xfffd
	v_add_co_ci_u32_e32 v7, vcc_lo, v39, v7, vcc_lo
	v_add_co_u32 v4, vcc_lo, v35, v4
	v_pack_b32_f16 v15, v26, v25
	v_pack_b32_f16 v14, v17, v28
	s_wait_alu 0xfffd
	v_add_co_ci_u32_e32 v5, vcc_lo, v39, v5, vcc_lo
	v_pack_b32_f16 v11, v30, v18
	v_add_co_u32 v8, vcc_lo, v35, v8
	v_pack_b32_f16 v10, v32, v37
	s_wait_alu 0xfffd
	v_add_co_ci_u32_e32 v9, vcc_lo, v39, v9, vcc_lo
	v_pack_b32_f16 v12, v16, v38
	s_clause 0x4
	global_store_b32 v[0:1], v15, off
	global_store_b32 v[2:3], v14, off
	;; [unrolled: 1-line block ×5, first 2 shown]
.LBB0_22:
	s_nop 0
	s_sendmsg sendmsg(MSG_DEALLOC_VGPRS)
	s_endpgm
	.section	.rodata,"a",@progbits
	.p2align	6, 0x0
	.amdhsa_kernel fft_rtc_back_len845_factors_13_5_13_wgs_195_tpt_65_halfLds_half_op_CI_CI_sbrr_dirReg
		.amdhsa_group_segment_fixed_size 0
		.amdhsa_private_segment_fixed_size 0
		.amdhsa_kernarg_size 104
		.amdhsa_user_sgpr_count 2
		.amdhsa_user_sgpr_dispatch_ptr 0
		.amdhsa_user_sgpr_queue_ptr 0
		.amdhsa_user_sgpr_kernarg_segment_ptr 1
		.amdhsa_user_sgpr_dispatch_id 0
		.amdhsa_user_sgpr_private_segment_size 0
		.amdhsa_wavefront_size32 1
		.amdhsa_uses_dynamic_stack 0
		.amdhsa_enable_private_segment 0
		.amdhsa_system_sgpr_workgroup_id_x 1
		.amdhsa_system_sgpr_workgroup_id_y 0
		.amdhsa_system_sgpr_workgroup_id_z 0
		.amdhsa_system_sgpr_workgroup_info 0
		.amdhsa_system_vgpr_workitem_id 0
		.amdhsa_next_free_vgpr 116
		.amdhsa_next_free_sgpr 43
		.amdhsa_reserve_vcc 1
		.amdhsa_float_round_mode_32 0
		.amdhsa_float_round_mode_16_64 0
		.amdhsa_float_denorm_mode_32 3
		.amdhsa_float_denorm_mode_16_64 3
		.amdhsa_fp16_overflow 0
		.amdhsa_workgroup_processor_mode 1
		.amdhsa_memory_ordered 1
		.amdhsa_forward_progress 0
		.amdhsa_round_robin_scheduling 0
		.amdhsa_exception_fp_ieee_invalid_op 0
		.amdhsa_exception_fp_denorm_src 0
		.amdhsa_exception_fp_ieee_div_zero 0
		.amdhsa_exception_fp_ieee_overflow 0
		.amdhsa_exception_fp_ieee_underflow 0
		.amdhsa_exception_fp_ieee_inexact 0
		.amdhsa_exception_int_div_zero 0
	.end_amdhsa_kernel
	.text
.Lfunc_end0:
	.size	fft_rtc_back_len845_factors_13_5_13_wgs_195_tpt_65_halfLds_half_op_CI_CI_sbrr_dirReg, .Lfunc_end0-fft_rtc_back_len845_factors_13_5_13_wgs_195_tpt_65_halfLds_half_op_CI_CI_sbrr_dirReg
                                        ; -- End function
	.section	.AMDGPU.csdata,"",@progbits
; Kernel info:
; codeLenInByte = 11536
; NumSgprs: 45
; NumVgprs: 116
; ScratchSize: 0
; MemoryBound: 0
; FloatMode: 240
; IeeeMode: 1
; LDSByteSize: 0 bytes/workgroup (compile time only)
; SGPRBlocks: 5
; VGPRBlocks: 14
; NumSGPRsForWavesPerEU: 45
; NumVGPRsForWavesPerEU: 116
; Occupancy: 12
; WaveLimiterHint : 1
; COMPUTE_PGM_RSRC2:SCRATCH_EN: 0
; COMPUTE_PGM_RSRC2:USER_SGPR: 2
; COMPUTE_PGM_RSRC2:TRAP_HANDLER: 0
; COMPUTE_PGM_RSRC2:TGID_X_EN: 1
; COMPUTE_PGM_RSRC2:TGID_Y_EN: 0
; COMPUTE_PGM_RSRC2:TGID_Z_EN: 0
; COMPUTE_PGM_RSRC2:TIDIG_COMP_CNT: 0
	.text
	.p2alignl 7, 3214868480
	.fill 96, 4, 3214868480
	.type	__hip_cuid_cf3365c134842f85,@object ; @__hip_cuid_cf3365c134842f85
	.section	.bss,"aw",@nobits
	.globl	__hip_cuid_cf3365c134842f85
__hip_cuid_cf3365c134842f85:
	.byte	0                               ; 0x0
	.size	__hip_cuid_cf3365c134842f85, 1

	.ident	"AMD clang version 19.0.0git (https://github.com/RadeonOpenCompute/llvm-project roc-6.4.0 25133 c7fe45cf4b819c5991fe208aaa96edf142730f1d)"
	.section	".note.GNU-stack","",@progbits
	.addrsig
	.addrsig_sym __hip_cuid_cf3365c134842f85
	.amdgpu_metadata
---
amdhsa.kernels:
  - .args:
      - .actual_access:  read_only
        .address_space:  global
        .offset:         0
        .size:           8
        .value_kind:     global_buffer
      - .offset:         8
        .size:           8
        .value_kind:     by_value
      - .actual_access:  read_only
        .address_space:  global
        .offset:         16
        .size:           8
        .value_kind:     global_buffer
      - .actual_access:  read_only
        .address_space:  global
        .offset:         24
        .size:           8
        .value_kind:     global_buffer
      - .actual_access:  read_only
        .address_space:  global
        .offset:         32
        .size:           8
        .value_kind:     global_buffer
      - .offset:         40
        .size:           8
        .value_kind:     by_value
      - .actual_access:  read_only
        .address_space:  global
        .offset:         48
        .size:           8
        .value_kind:     global_buffer
      - .actual_access:  read_only
        .address_space:  global
        .offset:         56
        .size:           8
        .value_kind:     global_buffer
      - .offset:         64
        .size:           4
        .value_kind:     by_value
      - .actual_access:  read_only
        .address_space:  global
        .offset:         72
        .size:           8
        .value_kind:     global_buffer
      - .actual_access:  read_only
        .address_space:  global
        .offset:         80
        .size:           8
        .value_kind:     global_buffer
      - .actual_access:  read_only
        .address_space:  global
        .offset:         88
        .size:           8
        .value_kind:     global_buffer
      - .actual_access:  write_only
        .address_space:  global
        .offset:         96
        .size:           8
        .value_kind:     global_buffer
    .group_segment_fixed_size: 0
    .kernarg_segment_align: 8
    .kernarg_segment_size: 104
    .language:       OpenCL C
    .language_version:
      - 2
      - 0
    .max_flat_workgroup_size: 195
    .name:           fft_rtc_back_len845_factors_13_5_13_wgs_195_tpt_65_halfLds_half_op_CI_CI_sbrr_dirReg
    .private_segment_fixed_size: 0
    .sgpr_count:     45
    .sgpr_spill_count: 0
    .symbol:         fft_rtc_back_len845_factors_13_5_13_wgs_195_tpt_65_halfLds_half_op_CI_CI_sbrr_dirReg.kd
    .uniform_work_group_size: 1
    .uses_dynamic_stack: false
    .vgpr_count:     116
    .vgpr_spill_count: 0
    .wavefront_size: 32
    .workgroup_processor_mode: 1
amdhsa.target:   amdgcn-amd-amdhsa--gfx1201
amdhsa.version:
  - 1
  - 2
...

	.end_amdgpu_metadata
